;; amdgpu-corpus repo=ROCm/rocFFT kind=compiled arch=gfx906 opt=O3
	.text
	.amdgcn_target "amdgcn-amd-amdhsa--gfx906"
	.amdhsa_code_object_version 6
	.protected	bluestein_single_fwd_len1309_dim1_sp_op_CI_CI ; -- Begin function bluestein_single_fwd_len1309_dim1_sp_op_CI_CI
	.globl	bluestein_single_fwd_len1309_dim1_sp_op_CI_CI
	.p2align	8
	.type	bluestein_single_fwd_len1309_dim1_sp_op_CI_CI,@function
bluestein_single_fwd_len1309_dim1_sp_op_CI_CI: ; @bluestein_single_fwd_len1309_dim1_sp_op_CI_CI
; %bb.0:
	s_load_dwordx4 s[0:3], s[4:5], 0x28
	v_mul_u32_u24_e32 v1, 0x227, v0
	v_add_u32_sdwa v88, s6, v1 dst_sel:DWORD dst_unused:UNUSED_PAD src0_sel:DWORD src1_sel:WORD_1
	v_mov_b32_e32 v89, 0
	s_waitcnt lgkmcnt(0)
	v_cmp_gt_u64_e32 vcc, s[0:1], v[88:89]
	s_and_saveexec_b64 s[0:1], vcc
	s_cbranch_execz .LBB0_23
; %bb.1:
	s_load_dwordx2 s[8:9], s[4:5], 0x0
	s_load_dwordx2 s[10:11], s[4:5], 0x38
	s_movk_i32 s0, 0x77
	v_mul_lo_u16_sdwa v1, v1, s0 dst_sel:DWORD dst_unused:UNUSED_PAD src0_sel:WORD_1 src1_sel:DWORD
	v_sub_u16_e32 v94, v0, v1
	s_movk_i32 s0, 0x4d
	v_cmp_gt_u16_e64 s[0:1], s0, v94
	v_lshlrev_b32_e32 v93, 3, v94
	s_and_saveexec_b64 s[6:7], s[0:1]
	s_cbranch_execz .LBB0_3
; %bb.2:
	s_load_dwordx2 s[12:13], s[4:5], 0x18
	s_waitcnt lgkmcnt(0)
	s_load_dwordx4 s[12:15], s[12:13], 0x0
	s_waitcnt lgkmcnt(0)
	v_mad_u64_u32 v[0:1], s[16:17], s14, v88, 0
	v_mad_u64_u32 v[2:3], s[16:17], s12, v94, 0
	;; [unrolled: 1-line block ×4, first 2 shown]
	v_mov_b32_e32 v1, v4
	v_lshlrev_b64 v[0:1], 3, v[0:1]
	v_mov_b32_e32 v3, v5
	v_mov_b32_e32 v6, s3
	v_lshlrev_b64 v[2:3], 3, v[2:3]
	v_add_co_u32_e32 v0, vcc, s2, v0
	v_addc_co_u32_e32 v1, vcc, v6, v1, vcc
	v_add_co_u32_e32 v0, vcc, v0, v2
	v_addc_co_u32_e32 v1, vcc, v1, v3, vcc
	v_mov_b32_e32 v2, s9
	v_add_co_u32_e32 v60, vcc, s8, v93
	s_mul_i32 s2, s13, 0x268
	s_mul_hi_u32 s3, s12, 0x268
	v_addc_co_u32_e32 v61, vcc, 0, v2, vcc
	s_add_i32 s2, s3, s2
	s_mul_i32 s3, s12, 0x268
	v_mov_b32_e32 v3, s2
	v_add_co_u32_e32 v2, vcc, s3, v0
	v_addc_co_u32_e32 v3, vcc, v1, v3, vcc
	v_mov_b32_e32 v5, s2
	v_add_co_u32_e32 v4, vcc, s3, v2
	v_addc_co_u32_e32 v5, vcc, v3, v5, vcc
	v_mov_b32_e32 v7, s2
	v_add_co_u32_e32 v6, vcc, s3, v4
	v_addc_co_u32_e32 v7, vcc, v5, v7, vcc
	global_load_dwordx2 v[8:9], v[0:1], off
	global_load_dwordx2 v[10:11], v[2:3], off
	;; [unrolled: 1-line block ×4, first 2 shown]
	global_load_dwordx2 v[16:17], v93, s[8:9]
	global_load_dwordx2 v[18:19], v93, s[8:9] offset:616
	global_load_dwordx2 v[20:21], v93, s[8:9] offset:1232
	;; [unrolled: 1-line block ×3, first 2 shown]
	v_mov_b32_e32 v1, s2
	v_add_co_u32_e32 v0, vcc, s3, v6
	v_addc_co_u32_e32 v1, vcc, v7, v1, vcc
	global_load_dwordx2 v[2:3], v[0:1], off
	v_mov_b32_e32 v4, s2
	v_add_co_u32_e32 v0, vcc, s3, v0
	v_addc_co_u32_e32 v1, vcc, v1, v4, vcc
	global_load_dwordx2 v[4:5], v[0:1], off
	;; [unrolled: 4-line block ×3, first 2 shown]
	global_load_dwordx2 v[24:25], v93, s[8:9] offset:2464
	global_load_dwordx2 v[26:27], v93, s[8:9] offset:3080
	;; [unrolled: 1-line block ×3, first 2 shown]
	v_mov_b32_e32 v30, s2
	v_add_co_u32_e32 v0, vcc, s3, v0
	v_addc_co_u32_e32 v1, vcc, v1, v30, vcc
	s_movk_i32 s12, 0x1000
	v_add_co_u32_e32 v32, vcc, s12, v60
	v_addc_co_u32_e32 v33, vcc, 0, v61, vcc
	global_load_dwordx2 v[30:31], v[0:1], off
	v_mov_b32_e32 v34, s2
	v_add_co_u32_e32 v0, vcc, s3, v0
	v_addc_co_u32_e32 v1, vcc, v1, v34, vcc
	global_load_dwordx2 v[34:35], v[0:1], off
	v_mov_b32_e32 v36, s2
	v_add_co_u32_e32 v0, vcc, s3, v0
	v_addc_co_u32_e32 v1, vcc, v1, v36, vcc
	global_load_dwordx2 v[36:37], v[0:1], off
	v_mov_b32_e32 v38, s2
	v_add_co_u32_e32 v0, vcc, s3, v0
	v_addc_co_u32_e32 v1, vcc, v1, v38, vcc
	global_load_dwordx2 v[38:39], v[0:1], off
	global_load_dwordx2 v[40:41], v[32:33], off offset:216
	global_load_dwordx2 v[42:43], v[32:33], off offset:832
	;; [unrolled: 1-line block ×4, first 2 shown]
	v_mov_b32_e32 v48, s2
	v_add_co_u32_e32 v0, vcc, s3, v0
	v_addc_co_u32_e32 v1, vcc, v1, v48, vcc
	global_load_dwordx2 v[48:49], v[0:1], off
	v_mov_b32_e32 v50, s2
	v_add_co_u32_e32 v0, vcc, s3, v0
	v_addc_co_u32_e32 v1, vcc, v1, v50, vcc
	global_load_dwordx2 v[50:51], v[0:1], off
	;; [unrolled: 4-line block ×3, first 2 shown]
	global_load_dwordx2 v[54:55], v[32:33], off offset:2680
	global_load_dwordx2 v[56:57], v[32:33], off offset:3296
	;; [unrolled: 1-line block ×3, first 2 shown]
	v_mov_b32_e32 v32, s2
	v_add_co_u32_e32 v0, vcc, s3, v0
	v_addc_co_u32_e32 v1, vcc, v1, v32, vcc
	s_movk_i32 s12, 0x2000
	v_add_co_u32_e32 v60, vcc, s12, v60
	v_addc_co_u32_e32 v61, vcc, 0, v61, vcc
	global_load_dwordx2 v[32:33], v[0:1], off
	v_mov_b32_e32 v64, s2
	v_add_co_u32_e32 v0, vcc, s3, v0
	v_addc_co_u32_e32 v1, vcc, v1, v64, vcc
	global_load_dwordx2 v[62:63], v[60:61], off offset:432
	global_load_dwordx2 v[64:65], v[0:1], off
	global_load_dwordx2 v[66:67], v[60:61], off offset:1048
	v_mov_b32_e32 v68, s2
	v_add_co_u32_e32 v0, vcc, s3, v0
	v_addc_co_u32_e32 v1, vcc, v1, v68, vcc
	global_load_dwordx2 v[68:69], v[0:1], off
	global_load_dwordx2 v[70:71], v[60:61], off offset:1664
	s_waitcnt vmcnt(29)
	v_mul_f32_e32 v0, v9, v17
	v_mul_f32_e32 v1, v8, v17
	v_fmac_f32_e32 v0, v8, v16
	v_fma_f32 v1, v9, v16, -v1
	s_waitcnt vmcnt(28)
	v_mul_f32_e32 v8, v11, v19
	v_mul_f32_e32 v9, v10, v19
	v_fmac_f32_e32 v8, v10, v18
	v_fma_f32 v9, v11, v18, -v9
	ds_write2_b64 v93, v[0:1], v[8:9] offset1:77
	s_waitcnt vmcnt(27)
	v_mul_f32_e32 v0, v13, v21
	v_mul_f32_e32 v1, v12, v21
	s_waitcnt vmcnt(26)
	v_mul_f32_e32 v8, v15, v23
	v_mul_f32_e32 v9, v14, v23
	v_fmac_f32_e32 v0, v12, v20
	v_fma_f32 v1, v13, v20, -v1
	v_fmac_f32_e32 v8, v14, v22
	v_fma_f32 v9, v15, v22, -v9
	ds_write2_b64 v93, v[0:1], v[8:9] offset0:154 offset1:231
	s_waitcnt vmcnt(22)
	v_mul_f32_e32 v0, v3, v25
	v_mul_f32_e32 v1, v2, v25
	v_fmac_f32_e32 v0, v2, v24
	v_fma_f32 v1, v3, v24, -v1
	s_waitcnt vmcnt(21)
	v_mul_f32_e32 v2, v5, v27
	v_mul_f32_e32 v3, v4, v27
	v_fmac_f32_e32 v2, v4, v26
	v_fma_f32 v3, v5, v26, -v3
	v_add_u32_e32 v4, 0x800, v93
	ds_write2_b64 v4, v[0:1], v[2:3] offset0:52 offset1:129
	s_waitcnt vmcnt(20)
	v_mul_f32_e32 v0, v7, v29
	v_mul_f32_e32 v1, v6, v29
	v_fmac_f32_e32 v0, v6, v28
	v_fma_f32 v1, v7, v28, -v1
	v_add_u32_e32 v4, 0xc00, v93
	s_waitcnt vmcnt(15)
	v_mul_f32_e32 v2, v31, v41
	v_mul_f32_e32 v3, v30, v41
	v_fmac_f32_e32 v2, v30, v40
	v_fma_f32 v3, v31, v40, -v3
	ds_write2_b64 v4, v[0:1], v[2:3] offset0:78 offset1:155
	s_waitcnt vmcnt(14)
	v_mul_f32_e32 v0, v35, v43
	v_mul_f32_e32 v1, v34, v43
	s_waitcnt vmcnt(13)
	v_mul_f32_e32 v2, v37, v45
	v_mul_f32_e32 v3, v36, v45
	v_fmac_f32_e32 v0, v34, v42
	v_fma_f32 v1, v35, v42, -v1
	v_fmac_f32_e32 v2, v36, v44
	v_fma_f32 v3, v37, v44, -v3
	v_add_u32_e32 v4, 0x1000, v93
	ds_write2_b64 v4, v[0:1], v[2:3] offset0:104 offset1:181
	s_waitcnt vmcnt(12)
	v_mul_f32_e32 v0, v39, v47
	v_mul_f32_e32 v1, v38, v47
	v_fmac_f32_e32 v0, v38, v46
	v_fma_f32 v1, v39, v46, -v1
	s_waitcnt vmcnt(8)
	v_mul_f32_e32 v2, v49, v55
	v_mul_f32_e32 v3, v48, v55
	v_fmac_f32_e32 v2, v48, v54
	v_fma_f32 v3, v49, v54, -v3
	v_add_u32_e32 v4, 0x1800, v93
	ds_write2_b64 v4, v[0:1], v[2:3] offset0:2 offset1:79
	s_waitcnt vmcnt(7)
	v_mul_f32_e32 v0, v51, v57
	v_mul_f32_e32 v1, v50, v57
	s_waitcnt vmcnt(6)
	v_mul_f32_e32 v2, v53, v59
	v_mul_f32_e32 v3, v52, v59
	v_fmac_f32_e32 v0, v50, v56
	v_fma_f32 v1, v51, v56, -v1
	v_fmac_f32_e32 v2, v52, v58
	v_fma_f32 v3, v53, v58, -v3
	ds_write2_b64 v4, v[0:1], v[2:3] offset0:156 offset1:233
	v_add_u32_e32 v4, 0x2000, v93
	s_waitcnt vmcnt(4)
	v_mul_f32_e32 v0, v33, v63
	v_mul_f32_e32 v1, v32, v63
	s_waitcnt vmcnt(2)
	v_mul_f32_e32 v2, v65, v67
	v_mul_f32_e32 v3, v64, v67
	v_fmac_f32_e32 v0, v32, v62
	v_fma_f32 v1, v33, v62, -v1
	v_fmac_f32_e32 v2, v64, v66
	v_fma_f32 v3, v65, v66, -v3
	ds_write2_b64 v4, v[0:1], v[2:3] offset0:54 offset1:131
	s_waitcnt vmcnt(0)
	v_mul_f32_e32 v0, v69, v71
	v_mul_f32_e32 v1, v68, v71
	v_fmac_f32_e32 v0, v68, v70
	v_fma_f32 v1, v69, v70, -v1
	ds_write_b64 v93, v[0:1] offset:9856
.LBB0_3:
	s_or_b64 exec, exec, s[6:7]
	v_mov_b32_e32 v4, 0
	v_mov_b32_e32 v5, 0
	s_waitcnt lgkmcnt(0)
	s_barrier
	s_waitcnt lgkmcnt(0)
                                        ; implicit-def: $vgpr8
                                        ; implicit-def: $vgpr24
                                        ; implicit-def: $vgpr32
                                        ; implicit-def: $vgpr36
                                        ; implicit-def: $vgpr30
                                        ; implicit-def: $vgpr22
                                        ; implicit-def: $vgpr18
                                        ; implicit-def: $vgpr14
	s_and_saveexec_b64 s[2:3], s[0:1]
	s_cbranch_execz .LBB0_5
; %bb.4:
	v_add_u32_e32 v0, 0x800, v93
	ds_read2_b64 v[4:7], v93 offset1:77
	ds_read2_b64 v[12:15], v93 offset0:154 offset1:231
	ds_read2_b64 v[16:19], v0 offset0:52 offset1:129
	v_add_u32_e32 v0, 0xc00, v93
	ds_read2_b64 v[20:23], v0 offset0:78 offset1:155
	v_add_u32_e32 v0, 0x1000, v93
	;; [unrolled: 2-line block ×3, first 2 shown]
	ds_read2_b64 v[8:11], v0 offset0:2 offset1:79
	ds_read2_b64 v[24:27], v0 offset0:156 offset1:233
	v_add_u32_e32 v0, 0x2000, v93
	ds_read2_b64 v[32:35], v0 offset0:54 offset1:131
	ds_read_b64 v[36:37], v93 offset:9856
.LBB0_5:
	s_or_b64 exec, exec, s[2:3]
	s_waitcnt lgkmcnt(0)
	v_sub_f32_e32 v51, v7, v37
	v_mul_f32_e32 v38, 0xbeb8f4ab, v51
	v_sub_f32_e32 v53, v13, v35
	v_add_f32_e32 v60, v36, v6
	v_sub_f32_e32 v50, v6, v36
	v_mov_b32_e32 v0, v38
	v_mul_f32_e32 v54, 0xbf2c7751, v53
	v_add_f32_e32 v61, v37, v7
	s_mov_b32 s3, 0x3f6eb680
	v_mul_f32_e32 v39, 0xbeb8f4ab, v50
	v_fmac_f32_e32 v0, 0x3f6eb680, v60
	v_add_f32_e32 v64, v34, v12
	v_sub_f32_e32 v52, v12, v34
	v_mov_b32_e32 v2, v54
	v_add_f32_e32 v0, v0, v4
	v_fma_f32 v1, v61, s3, -v39
	s_mov_b32 s6, 0x3f3d2fb0
	v_add_f32_e32 v65, v35, v13
	v_mul_f32_e32 v55, 0xbf2c7751, v52
	v_fmac_f32_e32 v2, 0x3f3d2fb0, v64
	v_sub_f32_e32 v78, v15, v33
	v_add_f32_e32 v1, v1, v5
	v_add_f32_e32 v0, v2, v0
	v_fma_f32 v2, v65, s6, -v55
	v_mul_f32_e32 v56, 0xbf65296c, v78
	v_add_f32_e32 v1, v2, v1
	v_add_f32_e32 v68, v32, v14
	v_sub_f32_e32 v77, v14, v32
	v_mov_b32_e32 v2, v56
	s_mov_b32 s7, 0x3ee437d1
	v_add_f32_e32 v69, v33, v15
	v_mul_f32_e32 v57, 0xbf65296c, v77
	v_fmac_f32_e32 v2, 0x3ee437d1, v68
	v_sub_f32_e32 v96, v17, v27
	v_add_f32_e32 v0, v2, v0
	v_fma_f32 v2, v69, s7, -v57
	v_mul_f32_e32 v58, 0xbf7ee86f, v96
	v_add_f32_e32 v1, v2, v1
	v_add_f32_e32 v72, v26, v16
	v_sub_f32_e32 v95, v16, v26
	v_mov_b32_e32 v2, v58
	s_mov_b32 s2, 0x3dbcf732
	v_add_f32_e32 v73, v27, v17
	v_mul_f32_e32 v59, 0xbf7ee86f, v95
	v_fmac_f32_e32 v2, 0x3dbcf732, v72
	v_sub_f32_e32 v110, v19, v25
	;; [unrolled: 12-line block ×5, first 2 shown]
	v_add_f32_e32 v0, v2, v0
	v_fma_f32 v2, v106, s14, -v71
	v_mul_f32_e32 v74, 0xbe3c28d5, v179
	v_add_f32_e32 v1, v2, v1
	v_add_f32_e32 v117, v30, v28
	v_mov_b32_e32 v2, v74
	v_sub_f32_e32 v180, v28, v30
	s_mov_b32 s15, 0xbf7ba420
	v_fmac_f32_e32 v2, 0xbf7ba420, v117
	v_add_f32_e32 v120, v31, v29
	v_mul_f32_e32 v79, 0xbe3c28d5, v180
	v_add_f32_e32 v89, v2, v0
	v_fma_f32 v0, v120, s15, -v79
	v_mul_f32_e32 v80, 0xbf2c7751, v51
	v_add_f32_e32 v90, v0, v1
	v_mov_b32_e32 v0, v80
	v_mul_f32_e32 v81, 0xbf7ee86f, v53
	v_fmac_f32_e32 v0, 0x3f3d2fb0, v60
	v_mov_b32_e32 v1, v81
	v_add_f32_e32 v0, v0, v4
	v_fmac_f32_e32 v1, 0x3dbcf732, v64
	v_mul_f32_e32 v87, 0xbf2c7751, v50
	v_add_f32_e32 v0, v1, v0
	v_fma_f32 v1, v61, s6, -v87
	v_mul_f32_e32 v91, 0xbf7ee86f, v52
	v_add_f32_e32 v1, v1, v5
	v_fma_f32 v2, v65, s2, -v91
	v_mul_f32_e32 v82, 0xbf4c4adb, v78
	v_add_f32_e32 v1, v2, v1
	v_mov_b32_e32 v2, v82
	v_fmac_f32_e32 v2, 0xbf1a4643, v68
	v_mul_f32_e32 v97, 0xbf4c4adb, v77
	v_add_f32_e32 v0, v2, v0
	v_fma_f32 v2, v69, s13, -v97
	v_mul_f32_e32 v83, 0xbe3c28d5, v96
	v_add_f32_e32 v1, v2, v1
	v_mov_b32_e32 v2, v83
	v_fmac_f32_e32 v2, 0xbf7ba420, v72
	;; [unrolled: 7-line block ×6, first 2 shown]
	v_mul_f32_e32 v104, 0x3eb8f4ab, v180
	v_mul_f32_e32 v108, 0xbf65296c, v51
	v_fma_f32 v3, v120, s3, -v104
	v_add_f32_e32 v2, v2, v0
	v_mov_b32_e32 v0, v108
	v_mul_f32_e32 v109, 0xbf4c4adb, v53
	v_add_f32_e32 v3, v3, v1
	v_fmac_f32_e32 v0, 0x3ee437d1, v60
	v_mov_b32_e32 v1, v109
	v_add_f32_e32 v0, v0, v4
	v_fmac_f32_e32 v1, 0xbf1a4643, v64
	v_mul_f32_e32 v111, 0x3e3c28d5, v78
	v_add_f32_e32 v0, v1, v0
	v_mov_b32_e32 v1, v111
	v_fmac_f32_e32 v1, 0xbf7ba420, v68
	v_mul_f32_e32 v112, 0x3f763a35, v96
	v_add_f32_e32 v0, v1, v0
	v_mov_b32_e32 v1, v112
	;; [unrolled: 4-line block ×6, first 2 shown]
	v_fmac_f32_e32 v1, 0xbf59a7d5, v117
	v_mul_f32_e32 v118, 0xbf65296c, v50
	v_add_f32_e32 v0, v1, v0
	v_fma_f32 v1, v61, s7, -v118
	v_mul_f32_e32 v119, 0xbf4c4adb, v52
	v_add_f32_e32 v1, v1, v5
	v_fma_f32 v40, v65, s13, -v119
	;; [unrolled: 3-line block ×8, first 2 shown]
	v_mul_f32_e32 v129, 0xbf7ee86f, v51
	v_add_f32_e32 v1, v40, v1
	v_mov_b32_e32 v40, v129
	v_mul_f32_e32 v130, 0xbe3c28d5, v53
	v_fmac_f32_e32 v40, 0x3dbcf732, v60
	v_mov_b32_e32 v41, v130
	v_add_f32_e32 v40, v40, v4
	v_fmac_f32_e32 v41, 0xbf7ba420, v64
	v_mul_f32_e32 v134, 0xbf7ee86f, v50
	v_add_f32_e32 v40, v41, v40
	v_fma_f32 v41, v61, s2, -v134
	v_mul_f32_e32 v135, 0xbe3c28d5, v52
	v_add_f32_e32 v41, v41, v5
	v_fma_f32 v42, v65, s15, -v135
	v_mul_f32_e32 v131, 0x3f763a35, v78
	v_add_f32_e32 v41, v42, v41
	v_mov_b32_e32 v42, v131
	v_fmac_f32_e32 v42, 0xbe8c1d8e, v68
	v_mul_f32_e32 v137, 0x3f763a35, v77
	v_add_f32_e32 v40, v42, v40
	v_fma_f32 v42, v69, s12, -v137
	v_mul_f32_e32 v132, 0x3eb8f4ab, v96
	v_add_f32_e32 v41, v42, v41
	v_mov_b32_e32 v42, v132
	v_fmac_f32_e32 v42, 0x3f6eb680, v72
	v_mul_f32_e32 v139, 0x3eb8f4ab, v95
	v_add_f32_e32 v40, v42, v40
	v_fma_f32 v42, v73, s3, -v139
	v_mul_f32_e32 v133, 0xbf65296c, v110
	v_add_f32_e32 v41, v42, v41
	v_mov_b32_e32 v42, v133
	v_fmac_f32_e32 v42, 0x3ee437d1, v75
	v_mul_f32_e32 v141, 0xbf65296c, v107
	v_add_f32_e32 v40, v42, v40
	v_fma_f32 v42, v76, s7, -v141
	v_mul_f32_e32 v136, 0xbf06c442, v128
	v_add_f32_e32 v41, v42, v41
	v_mov_b32_e32 v42, v136
	v_fmac_f32_e32 v42, 0xbf59a7d5, v84
	v_mul_f32_e32 v142, 0xbf06c442, v127
	v_add_f32_e32 v40, v42, v40
	v_fma_f32 v42, v85, s14, -v142
	v_mul_f32_e32 v138, 0x3f4c4adb, v178
	v_add_f32_e32 v41, v42, v41
	v_mov_b32_e32 v42, v138
	v_fmac_f32_e32 v42, 0xbf1a4643, v105
	v_mul_f32_e32 v143, 0x3f4c4adb, v177
	v_add_f32_e32 v40, v42, v40
	v_fma_f32 v42, v106, s13, -v143
	v_mul_f32_e32 v140, 0x3f2c7751, v179
	v_add_f32_e32 v41, v42, v41
	v_mov_b32_e32 v42, v140
	v_fmac_f32_e32 v42, 0x3f3d2fb0, v117
	v_mul_f32_e32 v144, 0x3f2c7751, v180
	v_add_f32_e32 v40, v42, v40
	v_fma_f32 v42, v120, s6, -v144
	v_mul_f32_e32 v145, 0xbf763a35, v51
	v_add_f32_e32 v41, v42, v41
	v_mov_b32_e32 v42, v145
	v_mul_f32_e32 v146, 0x3f06c442, v53
	v_fmac_f32_e32 v42, 0xbe8c1d8e, v60
	v_mov_b32_e32 v43, v146
	v_add_f32_e32 v42, v42, v4
	v_fmac_f32_e32 v43, 0xbf59a7d5, v64
	v_mul_f32_e32 v150, 0xbf763a35, v50
	v_add_f32_e32 v42, v43, v42
	v_fma_f32 v43, v61, s12, -v150
	v_mul_f32_e32 v151, 0x3f06c442, v52
	v_add_f32_e32 v43, v43, v5
	v_fma_f32 v44, v65, s14, -v151
	v_mul_f32_e32 v147, 0x3f2c7751, v78
	v_add_f32_e32 v43, v44, v43
	v_mov_b32_e32 v44, v147
	v_fmac_f32_e32 v44, 0x3f3d2fb0, v68
	v_mul_f32_e32 v153, 0x3f2c7751, v77
	v_add_f32_e32 v42, v44, v42
	v_fma_f32 v44, v69, s6, -v153
	v_mul_f32_e32 v148, 0xbf65296c, v96
	v_add_f32_e32 v43, v44, v43
	v_mov_b32_e32 v44, v148
	v_fmac_f32_e32 v44, 0x3ee437d1, v72
	v_mul_f32_e32 v155, 0xbf65296c, v95
	v_add_f32_e32 v42, v44, v42
	v_fma_f32 v44, v73, s7, -v155
	v_mul_f32_e32 v149, 0xbe3c28d5, v110
	v_add_f32_e32 v43, v44, v43
	v_mov_b32_e32 v44, v149
	v_fmac_f32_e32 v44, 0xbf7ba420, v75
	v_mul_f32_e32 v157, 0xbe3c28d5, v107
	v_add_f32_e32 v42, v44, v42
	v_fma_f32 v44, v76, s15, -v157
	v_mul_f32_e32 v152, 0x3f7ee86f, v128
	v_add_f32_e32 v43, v44, v43
	v_mov_b32_e32 v44, v152
	v_fmac_f32_e32 v44, 0x3dbcf732, v84
	v_mul_f32_e32 v158, 0x3f7ee86f, v127
	v_add_f32_e32 v42, v44, v42
	v_fma_f32 v44, v85, s2, -v158
	v_mul_f32_e32 v154, 0xbeb8f4ab, v178
	v_add_f32_e32 v43, v44, v43
	v_mov_b32_e32 v44, v154
	v_fmac_f32_e32 v44, 0x3f6eb680, v105
	v_mul_f32_e32 v159, 0xbeb8f4ab, v177
	v_add_f32_e32 v42, v44, v42
	v_fma_f32 v44, v106, s3, -v159
	v_mul_f32_e32 v156, 0xbf4c4adb, v179
	v_add_f32_e32 v43, v44, v43
	v_mov_b32_e32 v44, v156
	v_fmac_f32_e32 v44, 0xbf1a4643, v117
	v_mul_f32_e32 v160, 0xbf4c4adb, v180
	v_add_f32_e32 v44, v44, v42
	v_fma_f32 v42, v120, s13, -v160
	;; [unrolled: 56-line block ×3, first 2 shown]
	v_mul_f32_e32 v48, 0xbf06c442, v51
	v_add_f32_e32 v47, v42, v43
	v_fma_f32 v42, v60, s14, -v48
	v_mul_f32_e32 v49, 0x3f65296c, v53
	v_add_f32_e32 v42, v42, v4
	v_fma_f32 v43, v64, s7, -v49
	v_mul_f32_e32 v181, 0xbf06c442, v50
	v_add_f32_e32 v42, v43, v42
	v_mov_b32_e32 v43, v181
	v_mul_f32_e32 v182, 0x3f65296c, v52
	v_fmac_f32_e32 v43, 0xbf59a7d5, v61
	v_mov_b32_e32 v183, v182
	v_add_f32_e32 v43, v43, v5
	v_fmac_f32_e32 v183, 0x3ee437d1, v65
	v_add_f32_e32 v43, v183, v43
	v_mul_f32_e32 v183, 0xbf7ee86f, v78
	v_fma_f32 v184, v68, s2, -v183
	v_add_f32_e32 v42, v184, v42
	v_mul_f32_e32 v184, 0xbf7ee86f, v77
	v_mov_b32_e32 v185, v184
	v_fmac_f32_e32 v185, 0x3dbcf732, v69
	v_add_f32_e32 v43, v185, v43
	v_mul_f32_e32 v185, 0x3f4c4adb, v96
	v_fma_f32 v186, v72, s13, -v185
	v_add_f32_e32 v42, v186, v42
	v_mul_f32_e32 v186, 0x3f4c4adb, v95
	v_mov_b32_e32 v187, v186
	v_fmac_f32_e32 v187, 0xbf1a4643, v73
	v_add_f32_e32 v43, v187, v43
	v_mul_f32_e32 v187, 0xbeb8f4ab, v110
	v_fma_f32 v188, v75, s3, -v187
	v_add_f32_e32 v42, v188, v42
	v_mul_f32_e32 v188, 0xbeb8f4ab, v107
	v_mov_b32_e32 v189, v188
	v_fmac_f32_e32 v189, 0x3f6eb680, v76
	v_add_f32_e32 v43, v189, v43
	v_mul_f32_e32 v189, 0xbe3c28d5, v128
	v_fma_f32 v190, v84, s15, -v189
	v_add_f32_e32 v42, v190, v42
	v_mul_f32_e32 v190, 0xbe3c28d5, v127
	v_mov_b32_e32 v191, v190
	v_fmac_f32_e32 v191, 0xbf7ba420, v85
	v_fmac_f32_e32 v48, 0xbf59a7d5, v60
	v_add_f32_e32 v43, v191, v43
	v_mul_f32_e32 v191, 0x3f2c7751, v178
	v_add_f32_e32 v48, v48, v4
	v_fmac_f32_e32 v49, 0x3ee437d1, v64
	v_fma_f32 v192, v105, s6, -v191
	v_add_f32_e32 v48, v49, v48
	v_fma_f32 v49, v61, s14, -v181
	v_add_f32_e32 v42, v192, v42
	v_mul_f32_e32 v192, 0x3f2c7751, v177
	v_add_f32_e32 v49, v49, v5
	v_fma_f32 v181, v65, s7, -v182
	v_mov_b32_e32 v193, v192
	v_add_f32_e32 v49, v181, v49
	v_fma_f32 v181, v69, s2, -v184
	v_fmac_f32_e32 v193, 0x3f3d2fb0, v106
	v_add_f32_e32 v49, v181, v49
	v_fma_f32 v181, v73, s13, -v186
	v_add_f32_e32 v43, v193, v43
	v_mul_f32_e32 v193, 0xbf763a35, v179
	v_add_f32_e32 v49, v181, v49
	v_fma_f32 v181, v76, s3, -v188
	v_fma_f32 v194, v117, s12, -v193
	v_add_f32_e32 v49, v181, v49
	v_fma_f32 v181, v85, s15, -v190
	v_add_f32_e32 v42, v194, v42
	v_mul_f32_e32 v194, 0xbf763a35, v180
	v_add_f32_e32 v49, v181, v49
	v_fma_f32 v181, v106, s6, -v192
	v_add_f32_e32 v49, v181, v49
	v_fma_f32 v181, v120, s12, -v194
	v_add_f32_e32 v49, v181, v49
	v_mul_f32_e32 v181, 0xbe3c28d5, v51
	v_fma_f32 v51, v60, s15, -v181
	v_mul_f32_e32 v53, 0x3eb8f4ab, v53
	v_add_f32_e32 v51, v51, v4
	v_fma_f32 v182, v64, s3, -v53
	v_add_f32_e32 v51, v182, v51
	v_mul_f32_e32 v182, 0xbe3c28d5, v50
	v_fmac_f32_e32 v183, 0x3dbcf732, v68
	v_mov_b32_e32 v50, v182
	v_mul_f32_e32 v52, 0x3eb8f4ab, v52
	v_add_f32_e32 v48, v183, v48
	v_fmac_f32_e32 v50, 0xbf7ba420, v61
	v_mov_b32_e32 v183, v52
	v_add_f32_e32 v50, v50, v5
	v_fmac_f32_e32 v183, 0x3f6eb680, v65
	v_mul_f32_e32 v78, 0xbf06c442, v78
	v_add_f32_e32 v50, v183, v50
	v_fma_f32 v183, v68, s14, -v78
	v_mul_f32_e32 v77, 0xbf06c442, v77
	v_add_f32_e32 v51, v183, v51
	v_mov_b32_e32 v183, v77
	v_fmac_f32_e32 v183, 0xbf59a7d5, v69
	v_mul_f32_e32 v96, 0x3f2c7751, v96
	v_add_f32_e32 v50, v183, v50
	v_fma_f32 v183, v72, s6, -v96
	v_mul_f32_e32 v95, 0x3f2c7751, v95
	v_add_f32_e32 v51, v183, v51
	v_mov_b32_e32 v183, v95
	v_fmac_f32_e32 v183, 0x3f3d2fb0, v73
	v_mul_f32_e32 v110, 0xbf4c4adb, v110
	v_add_f32_e32 v50, v183, v50
	v_fma_f32 v183, v75, s13, -v110
	v_mul_f32_e32 v107, 0xbf4c4adb, v107
	v_fmac_f32_e32 v181, 0xbf7ba420, v60
	v_add_f32_e32 v51, v183, v51
	v_mov_b32_e32 v183, v107
	v_add_f32_e32 v181, v181, v4
	v_fmac_f32_e32 v53, 0x3f6eb680, v64
	v_fmac_f32_e32 v183, 0xbf1a4643, v76
	v_mul_f32_e32 v128, 0x3f65296c, v128
	v_add_f32_e32 v53, v53, v181
	v_fma_f32 v181, v61, s15, -v182
	v_add_f32_e32 v50, v183, v50
	v_fma_f32 v183, v84, s7, -v128
	v_mul_f32_e32 v127, 0x3f65296c, v127
	v_add_f32_e32 v181, v181, v5
	v_fma_f32 v52, v65, s3, -v52
	v_add_f32_e32 v51, v183, v51
	v_mov_b32_e32 v183, v127
	v_add_f32_e32 v52, v52, v181
	v_fma_f32 v77, v69, s14, -v77
	v_fmac_f32_e32 v183, 0x3ee437d1, v85
	v_mul_f32_e32 v178, 0xbf763a35, v178
	v_fmac_f32_e32 v78, 0xbf59a7d5, v68
	v_add_f32_e32 v52, v77, v52
	v_fma_f32 v77, v73, s6, -v95
	v_add_f32_e32 v50, v183, v50
	v_fma_f32 v183, v105, s12, -v178
	v_mul_f32_e32 v177, 0xbf763a35, v177
	v_add_f32_e32 v53, v78, v53
	v_fmac_f32_e32 v96, 0x3f3d2fb0, v72
	v_add_f32_e32 v52, v77, v52
	v_fma_f32 v77, v76, s13, -v107
	v_fmac_f32_e32 v185, 0xbf1a4643, v72
	v_add_f32_e32 v51, v183, v51
	v_mov_b32_e32 v183, v177
	v_add_f32_e32 v53, v96, v53
	v_fmac_f32_e32 v110, 0xbf1a4643, v75
	v_add_f32_e32 v52, v77, v52
	v_fma_f32 v77, v85, s7, -v127
	v_add_f32_e32 v48, v185, v48
	v_fmac_f32_e32 v187, 0x3f6eb680, v75
	v_fmac_f32_e32 v183, 0xbe8c1d8e, v106
	v_mul_f32_e32 v179, 0x3f7ee86f, v179
	v_add_f32_e32 v53, v110, v53
	v_fmac_f32_e32 v128, 0x3ee437d1, v84
	v_add_f32_e32 v52, v77, v52
	v_fma_f32 v77, v106, s12, -v177
	s_load_dwordx2 s[6:7], s[4:5], 0x20
	s_load_dwordx2 s[12:13], s[4:5], 0x8
	v_add_f32_e32 v48, v187, v48
	v_fmac_f32_e32 v189, 0xbf7ba420, v84
	v_add_f32_e32 v183, v183, v50
	v_fma_f32 v50, v117, s2, -v179
	v_mul_f32_e32 v180, 0x3f7ee86f, v180
	v_add_f32_e32 v53, v128, v53
	v_fmac_f32_e32 v178, 0xbe8c1d8e, v105
	v_mov_b32_e32 v195, v194
	v_add_f32_e32 v48, v189, v48
	v_fmac_f32_e32 v191, 0x3f3d2fb0, v105
	v_add_f32_e32 v50, v50, v51
	v_mov_b32_e32 v51, v180
	v_add_f32_e32 v53, v178, v53
	v_fmac_f32_e32 v179, 0x3dbcf732, v117
	v_fmac_f32_e32 v195, 0xbe8c1d8e, v120
	v_add_f32_e32 v48, v191, v48
	v_fmac_f32_e32 v193, 0xbe8c1d8e, v117
	v_fmac_f32_e32 v51, 0x3dbcf732, v120
	v_add_f32_e32 v77, v77, v52
	v_add_f32_e32 v52, v179, v53
	v_fma_f32 v53, v120, s2, -v180
	v_add_f32_e32 v43, v195, v43
	v_add_f32_e32 v48, v193, v48
	;; [unrolled: 1-line block ×4, first 2 shown]
	v_mul_lo_u16_e32 v95, 17, v94
	s_waitcnt lgkmcnt(0)
	s_barrier
	s_and_saveexec_b64 s[2:3], s[0:1]
	s_cbranch_execz .LBB0_7
; %bb.6:
	v_mul_f32_e32 v77, 0x3f6eb680, v60
	v_mul_f32_e32 v96, 0x3f3d2fb0, v60
	;; [unrolled: 1-line block ×18, first 2 shown]
	v_sub_f32_e32 v60, v60, v161
	v_mul_f32_e32 v181, 0x3f3d2fb0, v65
	v_mul_f32_e32 v183, 0x3dbcf732, v65
	;; [unrolled: 1-line block ×12, first 2 shown]
	v_add_f32_e32 v61, v166, v61
	v_add_f32_e32 v60, v60, v4
	v_sub_f32_e32 v64, v64, v162
	v_mul_f32_e32 v191, 0x3ee437d1, v69
	v_mul_f32_e32 v193, 0xbf1a4643, v69
	v_mul_f32_e32 v195, 0xbf7ba420, v69
	v_mul_f32_e32 v197, 0xbe8c1d8e, v69
	v_mul_f32_e32 v199, 0x3f3d2fb0, v69
	v_mul_f32_e32 v69, 0x3f6eb680, v69
	v_mul_f32_e32 v200, 0x3dbcf732, v72
	v_mul_f32_e32 v202, 0xbf7ba420, v72
	v_mul_f32_e32 v204, 0xbe8c1d8e, v72
	v_mul_f32_e32 v206, 0x3f6eb680, v72
	v_mul_f32_e32 v208, 0x3ee437d1, v72
	v_mul_f32_e32 v72, 0xbf59a7d5, v72
	v_add_f32_e32 v61, v61, v5
	v_add_f32_e32 v65, v167, v65
	v_add_f32_e32 v60, v64, v60
	v_sub_f32_e32 v64, v68, v163
	v_mul_f32_e32 v201, 0x3dbcf732, v73
	v_mul_f32_e32 v203, 0xbf7ba420, v73
	v_mul_f32_e32 v205, 0xbe8c1d8e, v73
	v_mul_f32_e32 v207, 0x3f6eb680, v73
	v_mul_f32_e32 v209, 0x3ee437d1, v73
	v_mul_f32_e32 v73, 0xbf59a7d5, v73
	v_mul_f32_e32 v210, 0xbe8c1d8e, v75
	v_mul_f32_e32 v212, 0xbf59a7d5, v75
	v_mul_f32_e32 v214, 0x3f3d2fb0, v75
	v_mul_f32_e32 v216, 0x3ee437d1, v75
	v_mul_f32_e32 v218, 0xbf7ba420, v75
	v_mul_f32_e32 v75, 0x3dbcf732, v75
	v_add_f32_e32 v61, v65, v61
	;; [unrolled: 16-line block ×5, first 2 shown]
	v_add_f32_e32 v65, v174, v85
	v_add_f32_e32 v60, v64, v60
	v_sub_f32_e32 v64, v105, v170
	v_mul_f32_e32 v241, 0xbf7ba420, v120
	v_mul_f32_e32 v243, 0x3f6eb680, v120
	;; [unrolled: 1-line block ×6, first 2 shown]
	v_add_f32_e32 v61, v65, v61
	v_add_f32_e32 v65, v175, v106
	;; [unrolled: 1-line block ×3, first 2 shown]
	v_sub_f32_e32 v64, v117, v172
	v_add_f32_e32 v61, v65, v61
	v_add_f32_e32 v65, v176, v120
	;; [unrolled: 1-line block ×20, first 2 shown]
	v_sub_f32_e32 v64, v178, v145
	v_add_f32_e32 v64, v64, v4
	v_sub_f32_e32 v68, v188, v146
	v_add_f32_e32 v64, v68, v64
	v_sub_f32_e32 v68, v198, v147
	v_add_f32_e32 v64, v68, v64
	v_sub_f32_e32 v68, v208, v148
	v_add_f32_e32 v64, v68, v64
	v_sub_f32_e32 v68, v218, v149
	v_add_f32_e32 v64, v68, v64
	v_sub_f32_e32 v68, v228, v152
	v_add_f32_e32 v64, v68, v64
	v_sub_f32_e32 v68, v238, v154
	v_add_f32_e32 v64, v68, v64
	v_sub_f32_e32 v68, v248, v156
	v_add_f32_e32 v64, v68, v64
	v_add_f32_e32 v68, v134, v177
	v_add_f32_e32 v68, v68, v5
	v_add_f32_e32 v69, v135, v187
	v_add_f32_e32 v68, v69, v68
	v_add_f32_e32 v69, v137, v197
	v_add_f32_e32 v68, v69, v68
	v_add_f32_e32 v69, v139, v207
	v_add_f32_e32 v68, v69, v68
	v_add_f32_e32 v69, v141, v217
	v_add_f32_e32 v68, v69, v68
	v_add_f32_e32 v69, v142, v227
	v_add_f32_e32 v68, v69, v68
	v_add_f32_e32 v69, v143, v237
	v_add_f32_e32 v68, v69, v68
	v_add_f32_e32 v69, v144, v247
	v_add_f32_e32 v69, v69, v68
	v_sub_f32_e32 v68, v128, v129
	v_add_f32_e32 v68, v68, v4
	v_sub_f32_e32 v72, v186, v130
	v_add_f32_e32 v68, v72, v68
	v_sub_f32_e32 v72, v196, v131
	v_add_f32_e32 v68, v72, v68
	v_sub_f32_e32 v72, v206, v132
	v_add_f32_e32 v68, v72, v68
	v_sub_f32_e32 v72, v216, v133
	v_add_f32_e32 v68, v72, v68
	v_sub_f32_e32 v72, v226, v136
	v_add_f32_e32 v68, v72, v68
	v_sub_f32_e32 v72, v236, v138
	v_add_f32_e32 v68, v72, v68
	v_sub_f32_e32 v72, v246, v140
	v_add_f32_e32 v68, v72, v68
	v_add_f32_e32 v72, v118, v127
	v_add_f32_e32 v72, v72, v5
	v_add_f32_e32 v73, v119, v185
	v_add_f32_e32 v72, v73, v72
	v_add_f32_e32 v73, v121, v195
	v_add_f32_e32 v72, v73, v72
	v_add_f32_e32 v73, v122, v205
	v_add_f32_e32 v72, v73, v72
	v_add_f32_e32 v73, v123, v215
	v_add_f32_e32 v72, v73, v72
	v_add_f32_e32 v73, v124, v225
	v_add_f32_e32 v72, v73, v72
	v_add_f32_e32 v73, v125, v235
	v_add_f32_e32 v72, v73, v72
	v_add_f32_e32 v73, v126, v245
	v_add_f32_e32 v73, v73, v72
	v_sub_f32_e32 v72, v110, v108
	v_add_f32_e32 v72, v72, v4
	v_sub_f32_e32 v75, v184, v109
	v_add_f32_e32 v72, v75, v72
	v_sub_f32_e32 v75, v194, v111
	v_add_f32_e32 v72, v75, v72
	v_sub_f32_e32 v75, v204, v112
	v_add_f32_e32 v72, v75, v72
	v_sub_f32_e32 v75, v214, v113
	v_add_f32_e32 v72, v75, v72
	v_sub_f32_e32 v75, v224, v114
	v_add_f32_e32 v72, v75, v72
	v_sub_f32_e32 v75, v234, v115
	v_add_f32_e32 v72, v75, v72
	v_sub_f32_e32 v75, v244, v116
	v_add_f32_e32 v72, v75, v72
	v_add_f32_e32 v75, v87, v107
	v_add_f32_e32 v75, v75, v5
	v_add_f32_e32 v76, v91, v183
	v_add_f32_e32 v75, v76, v75
	v_add_f32_e32 v76, v97, v193
	v_add_f32_e32 v75, v76, v75
	v_add_f32_e32 v76, v99, v203
	v_add_f32_e32 v75, v76, v75
	v_add_f32_e32 v76, v101, v213
	v_add_f32_e32 v75, v76, v75
	v_add_f32_e32 v76, v102, v223
	v_add_f32_e32 v75, v76, v75
	v_add_f32_e32 v76, v103, v233
	v_add_f32_e32 v75, v76, v75
	v_add_f32_e32 v76, v104, v243
	v_add_f32_e32 v76, v76, v75
	v_sub_f32_e32 v75, v96, v80
	v_add_f32_e32 v39, v39, v78
	v_sub_f32_e32 v38, v77, v38
	v_add_f32_e32 v75, v75, v4
	v_add_f32_e32 v39, v39, v5
	;; [unrolled: 1-line block ×20, first 2 shown]
	v_sub_f32_e32 v54, v180, v54
	v_add_f32_e32 v5, v31, v5
	v_add_f32_e32 v4, v30, v4
	v_sub_f32_e32 v80, v182, v81
	v_add_f32_e32 v39, v55, v39
	v_add_f32_e32 v55, v57, v191
	v_add_f32_e32 v38, v54, v38
	v_sub_f32_e32 v54, v190, v56
	v_add_f32_e32 v5, v9, v5
	;; [unrolled: 4-line block ×13, first 2 shown]
	v_add_f32_e32 v38, v54, v38
	v_add_f32_e32 v5, v37, v5
	;; [unrolled: 1-line block ×3, first 2 shown]
	v_lshlrev_b32_e32 v6, 3, v95
	v_add_f32_e32 v75, v80, v75
	ds_write2_b64 v6, v[4:5], v[38:39] offset1:1
	ds_write2_b64 v6, v[75:76], v[72:73] offset0:2 offset1:3
	ds_write2_b64 v6, v[68:69], v[64:65] offset0:4 offset1:5
	;; [unrolled: 1-line block ×7, first 2 shown]
	ds_write_b64 v6, v[89:90] offset:128
.LBB0_7:
	s_or_b64 exec, exec, s[2:3]
	v_add_u32_e32 v4, 0xa00, v93
	s_waitcnt lgkmcnt(0)
	s_barrier
	ds_read2_b64 v[32:35], v4 offset0:54 offset1:241
	v_add_u32_e32 v4, 0x1600, v93
	ds_read2_b64 v[28:31], v93 offset1:187
	ds_read2_b64 v[36:39], v4 offset0:44 offset1:231
	ds_read_b64 v[54:55], v93 offset:8976
	s_movk_i32 s2, 0x44
	v_cmp_gt_u16_e64 s[2:3], s2, v94
	s_and_saveexec_b64 s[4:5], s[2:3]
	s_cbranch_execz .LBB0_9
; %bb.8:
	v_add_u32_e32 v4, 0xe00, v93
	v_add_u32_e32 v12, 0x200, v93
	ds_read2_b64 v[4:7], v4 offset0:45 offset1:232
	v_add_u32_e32 v8, 0x1a00, v93
	ds_read2_b64 v[8:11], v8 offset0:35 offset1:222
	ds_read2_b64 v[12:15], v12 offset0:55 offset1:242
	ds_read_b64 v[40:41], v93 offset:9928
	s_waitcnt lgkmcnt(2)
	v_mov_b32_e32 v44, v10
	v_mov_b32_e32 v48, v6
	;; [unrolled: 1-line block ×8, first 2 shown]
	s_waitcnt lgkmcnt(1)
	v_mov_b32_e32 v50, v14
	v_mov_b32_e32 v51, v15
	v_mov_b32_e32 v42, v12
	v_mov_b32_e32 v43, v13
.LBB0_9:
	s_or_b64 exec, exec, s[4:5]
	s_movk_i32 s4, 0xf1
	v_mul_lo_u16_sdwa v4, v94, s4 dst_sel:DWORD dst_unused:UNUSED_PAD src0_sel:BYTE_0 src1_sel:DWORD
	v_lshrrev_b16_e32 v64, 12, v4
	v_add_u16_e32 v5, 0x77, v94
	v_mul_lo_u16_e32 v4, 17, v64
	v_mul_lo_u16_sdwa v6, v5, s4 dst_sel:DWORD dst_unused:UNUSED_PAD src0_sel:BYTE_0 src1_sel:DWORD
	v_sub_u16_e32 v4, v94, v4
	v_lshrrev_b16_e32 v96, 12, v6
	v_and_b32_e32 v65, 0xff, v4
	v_mul_lo_u16_e32 v6, 17, v96
	v_mul_u32_u24_e32 v4, 6, v65
	v_sub_u16_e32 v5, v5, v6
	v_lshlrev_b32_e32 v4, 3, v4
	v_and_b32_e32 v97, 0xff, v5
	global_load_dwordx4 v[20:23], v4, s[12:13]
	global_load_dwordx4 v[16:19], v4, s[12:13] offset:16
	global_load_dwordx4 v[24:27], v4, s[12:13] offset:32
	v_mul_u32_u24_e32 v4, 6, v97
	v_lshlrev_b32_e32 v56, 3, v4
	global_load_dwordx4 v[4:7], v56, s[12:13]
	global_load_dwordx4 v[12:15], v56, s[12:13] offset:16
	global_load_dwordx4 v[8:11], v56, s[12:13] offset:32
	s_mov_b32 s14, 0x3f5ff5aa
	s_mov_b32 s15, 0x3f3bfb3b
	;; [unrolled: 1-line block ×4, first 2 shown]
	s_load_dwordx4 s[4:7], s[6:7], 0x0
	s_waitcnt vmcnt(0) lgkmcnt(0)
	s_barrier
	v_mul_f32_e32 v56, v31, v21
	v_mul_f32_e32 v57, v30, v21
	;; [unrolled: 1-line block ×14, first 2 shown]
	v_fma_f32 v30, v30, v20, -v56
	v_fmac_f32_e32 v57, v31, v20
	v_fma_f32 v31, v32, v22, -v58
	v_fma_f32 v32, v34, v16, -v60
	v_fmac_f32_e32 v61, v35, v16
	v_fma_f32 v34, v38, v24, -v66
	v_fma_f32 v35, v54, v26, -v68
	v_mul_f32_e32 v70, v51, v5
	v_mul_f32_e32 v74, v49, v13
	;; [unrolled: 1-line block ×7, first 2 shown]
	v_fmac_f32_e32 v59, v33, v22
	v_fma_f32 v33, v36, v18, -v62
	v_fmac_f32_e32 v63, v37, v18
	v_fmac_f32_e32 v67, v39, v24
	v_fmac_f32_e32 v69, v55, v26
	v_fmac_f32_e32 v79, v45, v8
	v_fmac_f32_e32 v81, v41, v10
	v_add_f32_e32 v41, v30, v35
	v_add_f32_e32 v45, v31, v34
	v_mul_f32_e32 v71, v50, v5
	v_mul_f32_e32 v72, v53, v7
	;; [unrolled: 1-line block ×3, first 2 shown]
	v_fma_f32 v36, v50, v4, -v70
	v_fma_f32 v38, v48, v12, -v74
	v_fmac_f32_e32 v75, v49, v12
	v_fma_f32 v39, v46, v14, -v76
	v_fmac_f32_e32 v77, v47, v14
	v_fma_f32 v50, v44, v8, -v78
	v_add_f32_e32 v44, v57, v69
	v_add_f32_e32 v46, v59, v67
	v_sub_f32_e32 v31, v31, v34
	v_add_f32_e32 v47, v32, v33
	v_add_f32_e32 v48, v61, v63
	v_sub_f32_e32 v32, v33, v32
	v_add_f32_e32 v49, v45, v41
	v_fmac_f32_e32 v71, v51, v4
	v_fma_f32 v37, v52, v6, -v72
	v_fmac_f32_e32 v73, v53, v6
	v_sub_f32_e32 v30, v30, v35
	v_sub_f32_e32 v34, v59, v67
	;; [unrolled: 1-line block ×3, first 2 shown]
	v_add_f32_e32 v51, v46, v44
	v_sub_f32_e32 v52, v45, v41
	v_sub_f32_e32 v53, v46, v44
	;; [unrolled: 1-line block ×5, first 2 shown]
	v_add_f32_e32 v44, v32, v31
	v_add_f32_e32 v47, v47, v49
	v_sub_f32_e32 v35, v57, v69
	v_sub_f32_e32 v46, v48, v46
	v_add_f32_e32 v45, v33, v34
	v_sub_f32_e32 v56, v32, v31
	v_sub_f32_e32 v32, v30, v32
	;; [unrolled: 1-line block ×3, first 2 shown]
	v_add_f32_e32 v48, v48, v51
	v_add_f32_e32 v30, v44, v30
	;; [unrolled: 1-line block ×3, first 2 shown]
	v_sub_f32_e32 v57, v33, v34
	v_sub_f32_e32 v33, v35, v33
	;; [unrolled: 1-line block ×3, first 2 shown]
	v_add_f32_e32 v35, v45, v35
	v_add_f32_e32 v45, v29, v48
	v_mov_b32_e32 v58, v44
	v_mul_f32_e32 v28, 0x3f4a47b2, v41
	v_mul_f32_e32 v29, 0x3f4a47b2, v54
	;; [unrolled: 1-line block ×8, first 2 shown]
	v_fmac_f32_e32 v58, 0xbf955555, v47
	v_mov_b32_e32 v47, v45
	v_fmac_f32_e32 v47, 0xbf955555, v48
	v_fma_f32 v41, v52, s15, -v41
	v_fma_f32 v48, v53, s15, -v49
	v_fma_f32 v49, v52, s16, -v28
	v_fmac_f32_e32 v28, 0x3d64c772, v55
	v_fma_f32 v52, v53, s16, -v29
	v_fmac_f32_e32 v29, 0x3d64c772, v46
	v_fma_f32 v31, v31, s14, -v51
	v_fmac_f32_e32 v51, 0x3eae86e6, v32
	v_fma_f32 v34, v34, s14, -v54
	v_fmac_f32_e32 v54, 0x3eae86e6, v33
	v_fma_f32 v32, v32, s17, -v56
	v_fma_f32 v33, v33, s17, -v57
	v_fma_f32 v40, v40, v10, -v80
	v_add_f32_e32 v28, v28, v58
	v_add_f32_e32 v29, v29, v47
	v_add_f32_e32 v55, v49, v58
	v_add_f32_e32 v52, v52, v47
	v_fmac_f32_e32 v51, 0x3ee1c552, v30
	v_fmac_f32_e32 v54, 0x3ee1c552, v35
	;; [unrolled: 1-line block ×4, first 2 shown]
	v_add_f32_e32 v41, v41, v58
	v_add_f32_e32 v53, v48, v47
	v_fmac_f32_e32 v34, 0x3ee1c552, v35
	v_add_f32_e32 v46, v54, v28
	v_sub_f32_e32 v47, v29, v51
	v_add_f32_e32 v48, v33, v55
	v_sub_f32_e32 v49, v52, v32
	v_sub_f32_e32 v60, v55, v33
	v_add_f32_e32 v61, v32, v52
	v_sub_f32_e32 v62, v28, v54
	v_add_f32_e32 v63, v51, v29
	v_add_f32_e32 v28, v36, v40
	;; [unrolled: 1-line block ×5, first 2 shown]
	v_fmac_f32_e32 v31, 0x3ee1c552, v30
	v_sub_f32_e32 v56, v41, v34
	v_add_f32_e32 v58, v34, v41
	v_sub_f32_e32 v30, v36, v40
	v_sub_f32_e32 v34, v37, v50
	;; [unrolled: 1-line block ×3, first 2 shown]
	v_add_f32_e32 v36, v38, v39
	v_add_f32_e32 v37, v75, v77
	v_sub_f32_e32 v38, v39, v38
	v_sub_f32_e32 v39, v77, v75
	v_add_f32_e32 v40, v32, v28
	v_add_f32_e32 v41, v33, v29
	;; [unrolled: 1-line block ×3, first 2 shown]
	v_sub_f32_e32 v59, v53, v31
	v_sub_f32_e32 v31, v71, v81
	;; [unrolled: 1-line block ×8, first 2 shown]
	v_add_f32_e32 v28, v38, v34
	v_add_f32_e32 v29, v39, v35
	;; [unrolled: 1-line block ×4, first 2 shown]
	v_sub_f32_e32 v54, v38, v34
	v_sub_f32_e32 v55, v39, v35
	;; [unrolled: 1-line block ×4, first 2 shown]
	v_add_f32_e32 v66, v28, v30
	v_add_f32_e32 v67, v29, v31
	v_add_f32_e32 v28, v42, v36
	v_add_f32_e32 v29, v43, v37
	v_sub_f32_e32 v38, v30, v38
	v_sub_f32_e32 v39, v31, v39
	v_mul_f32_e32 v40, 0x3f4a47b2, v52
	v_mul_f32_e32 v41, 0x3f4a47b2, v53
	;; [unrolled: 1-line block ×8, first 2 shown]
	v_mov_b32_e32 v54, v28
	v_mov_b32_e32 v55, v29
	v_fmac_f32_e32 v54, 0xbf955555, v36
	v_fmac_f32_e32 v55, 0xbf955555, v37
	v_fma_f32 v42, v50, s15, -v42
	v_fma_f32 v43, v51, s15, -v43
	v_fma_f32 v50, v50, s16, -v40
	v_fmac_f32_e32 v40, 0x3d64c772, v32
	v_fma_f32 v51, v51, s16, -v41
	v_fmac_f32_e32 v41, 0x3d64c772, v33
	v_fma_f32 v32, v34, s14, -v30
	;; [unrolled: 2-line block ×4, first 2 shown]
	v_fma_f32 v36, v39, s17, -v53
	v_add_f32_e32 v34, v40, v54
	v_add_f32_e32 v37, v41, v55
	;; [unrolled: 1-line block ×6, first 2 shown]
	v_fmac_f32_e32 v30, 0x3ee1c552, v66
	v_fmac_f32_e32 v31, 0x3ee1c552, v67
	;; [unrolled: 1-line block ×6, first 2 shown]
	v_mul_u32_u24_e32 v42, 0x77, v64
	v_add_f32_e32 v50, v33, v38
	v_sub_f32_e32 v51, v40, v32
	v_sub_f32_e32 v52, v39, v36
	v_add_f32_e32 v53, v35, v41
	v_sub_f32_e32 v54, v34, v31
	v_add_f32_e32 v55, v30, v37
	v_add_lshl_u32 v98, v42, v65, 3
	ds_write2_b64 v98, v[44:45], v[46:47] offset1:17
	ds_write2_b64 v98, v[48:49], v[56:57] offset0:34 offset1:51
	ds_write2_b64 v98, v[58:59], v[60:61] offset0:68 offset1:85
	ds_write_b64 v98, v[62:63] offset:816
	s_and_saveexec_b64 s[14:15], s[2:3]
	s_cbranch_execz .LBB0_11
; %bb.10:
	v_sub_f32_e32 v42, v38, v33
	v_sub_f32_e32 v33, v41, v35
	;; [unrolled: 1-line block ×3, first 2 shown]
	v_mul_u32_u24_e32 v30, 0x77, v96
	v_add_f32_e32 v34, v31, v34
	v_add_lshl_u32 v30, v30, v97, 3
	v_add_f32_e32 v43, v32, v40
	v_add_f32_e32 v32, v36, v39
	ds_write2_b64 v30, v[28:29], v[34:35] offset1:17
	ds_write2_b64 v30, v[32:33], v[42:43] offset0:34 offset1:51
	ds_write2_b64 v30, v[50:51], v[52:53] offset0:68 offset1:85
	ds_write_b64 v30, v[54:55] offset:816
.LBB0_11:
	s_or_b64 exec, exec, s[14:15]
	v_mov_b32_e32 v29, s13
	s_movk_i32 s14, 0x50
	v_mov_b32_e32 v28, s12
	v_mad_u64_u32 v[48:49], s[12:13], v94, s14, v[28:29]
	s_waitcnt lgkmcnt(0)
	s_barrier
	global_load_dwordx4 v[40:43], v[48:49], off offset:816
	global_load_dwordx4 v[36:39], v[48:49], off offset:832
	;; [unrolled: 1-line block ×5, first 2 shown]
	ds_read_b64 v[48:49], v93
	ds_read2_b64 v[56:59], v93 offset0:119 offset1:238
	v_add_u32_e32 v78, 0x800, v93
	v_add_u32_e32 v79, 0x1000, v93
	v_add_u32_e32 v77, 0x1800, v93
	v_add_u32_e32 v76, 0x2000, v93
	ds_read2_b64 v[60:63], v78 offset0:101 offset1:220
	ds_read2_b64 v[64:67], v79 offset0:83 offset1:202
	;; [unrolled: 1-line block ×4, first 2 shown]
	s_mov_b32 s12, 0x3f575c64
	s_mov_b32 s13, 0x3ed4b147
	;; [unrolled: 1-line block ×5, first 2 shown]
	s_waitcnt vmcnt(4) lgkmcnt(4)
	v_mul_f32_e32 v80, v57, v41
	v_mul_f32_e32 v81, v56, v41
	;; [unrolled: 1-line block ×4, first 2 shown]
	s_waitcnt vmcnt(3) lgkmcnt(3)
	v_mul_f32_e32 v84, v61, v37
	v_mul_f32_e32 v86, v63, v39
	s_waitcnt vmcnt(2) lgkmcnt(2)
	v_mul_f32_e32 v99, v67, v35
	v_mul_f32_e32 v100, v66, v35
	s_waitcnt vmcnt(0) lgkmcnt(0)
	v_mul_f32_e32 v107, v75, v47
	v_fma_f32 v56, v56, v40, -v80
	v_fmac_f32_e32 v81, v57, v40
	v_mul_f32_e32 v85, v60, v37
	v_mul_f32_e32 v87, v62, v39
	;; [unrolled: 1-line block ×5, first 2 shown]
	v_fma_f32 v58, v58, v42, -v82
	v_fmac_f32_e32 v83, v59, v42
	v_fma_f32 v59, v60, v36, -v84
	v_fma_f32 v60, v62, v38, -v86
	;; [unrolled: 1-line block ×3, first 2 shown]
	v_fmac_f32_e32 v100, v67, v34
	v_fma_f32 v57, v74, v46, -v107
	v_add_f32_e32 v66, v48, v56
	v_add_f32_e32 v67, v49, v81
	v_mul_f32_e32 v92, v64, v33
	v_mul_f32_e32 v102, v68, v29
	;; [unrolled: 1-line block ×3, first 2 shown]
	v_fmac_f32_e32 v85, v61, v36
	v_fmac_f32_e32 v87, v63, v38
	v_fma_f32 v61, v64, v32, -v91
	v_fma_f32 v63, v68, v28, -v101
	;; [unrolled: 1-line block ×3, first 2 shown]
	v_add_f32_e32 v68, v56, v57
	v_sub_f32_e32 v70, v56, v57
	v_add_f32_e32 v56, v66, v58
	v_add_f32_e32 v66, v67, v83
	;; [unrolled: 1-line block ×4, first 2 shown]
	v_fmac_f32_e32 v92, v65, v32
	v_add_f32_e32 v56, v56, v60
	v_add_f32_e32 v66, v66, v87
	;; [unrolled: 1-line block ×4, first 2 shown]
	v_mul_f32_e32 v108, v74, v47
	v_fmac_f32_e32 v102, v69, v28
	v_add_f32_e32 v56, v56, v62
	v_add_f32_e32 v66, v66, v100
	v_mul_f32_e32 v105, v73, v45
	v_mul_f32_e32 v106, v72, v45
	v_fmac_f32_e32 v104, v71, v30
	v_fmac_f32_e32 v108, v75, v46
	v_add_f32_e32 v56, v56, v63
	v_add_f32_e32 v66, v66, v102
	v_fma_f32 v65, v72, v44, -v105
	v_fmac_f32_e32 v106, v73, v44
	v_add_f32_e32 v69, v81, v108
	v_mul_f32_e32 v72, 0xbf0a6770, v70
	v_add_f32_e32 v56, v56, v64
	v_add_f32_e32 v66, v66, v104
	v_sub_f32_e32 v71, v81, v108
	v_mov_b32_e32 v74, v72
	v_fma_f32 v72, v69, s12, -v72
	v_add_f32_e32 v56, v56, v65
	v_add_f32_e32 v66, v66, v106
	v_mul_f32_e32 v80, 0xbf68dda4, v70
	v_mul_f32_e32 v86, 0xbf7d64f0, v70
	;; [unrolled: 1-line block ×5, first 2 shown]
	v_add_f32_e32 v56, v56, v57
	v_add_f32_e32 v57, v66, v108
	;; [unrolled: 1-line block ×3, first 2 shown]
	v_mul_f32_e32 v72, 0xbf68dda4, v71
	v_mov_b32_e32 v81, v80
	v_mul_f32_e32 v82, 0xbf7d64f0, v71
	v_mov_b32_e32 v91, v86
	;; [unrolled: 2-line block ×4, first 2 shown]
	v_fma_f32 v73, v68, s12, -v67
	v_fmac_f32_e32 v67, 0x3f575c64, v68
	v_fmac_f32_e32 v74, 0x3f575c64, v69
	v_fma_f32 v75, v68, s13, -v72
	v_fmac_f32_e32 v81, 0x3ed4b147, v69
	v_fmac_f32_e32 v72, 0x3ed4b147, v68
	v_fma_f32 v80, v69, s13, -v80
	v_fma_f32 v84, v68, s14, -v82
	v_fmac_f32_e32 v91, 0xbe11bafb, v69
	v_fmac_f32_e32 v82, 0xbe11bafb, v68
	v_fma_f32 v86, v69, s14, -v86
	;; [unrolled: 4-line block ×4, first 2 shown]
	v_add_f32_e32 v74, v49, v74
	v_add_f32_e32 v81, v49, v81
	;; [unrolled: 1-line block ×10, first 2 shown]
	v_sub_f32_e32 v58, v58, v65
	v_sub_f32_e32 v65, v83, v106
	v_mul_f32_e32 v70, 0xbf68dda4, v65
	v_add_f32_e32 v73, v48, v73
	v_add_f32_e32 v67, v48, v67
	;; [unrolled: 1-line block ×10, first 2 shown]
	v_fma_f32 v71, v68, s13, -v70
	v_add_f32_e32 v69, v83, v106
	v_add_f32_e32 v71, v71, v73
	v_mul_f32_e32 v73, 0xbf68dda4, v58
	v_fmac_f32_e32 v70, 0x3ed4b147, v68
	v_add_f32_e32 v67, v70, v67
	v_fma_f32 v70, v69, s13, -v73
	v_add_f32_e32 v66, v70, v66
	v_mul_f32_e32 v70, 0xbf4178ce, v65
	v_mov_b32_e32 v83, v73
	v_fma_f32 v73, v68, s15, -v70
	v_fmac_f32_e32 v83, 0x3ed4b147, v69
	v_add_f32_e32 v73, v73, v75
	v_mul_f32_e32 v75, 0xbf4178ce, v58
	v_add_f32_e32 v74, v83, v74
	v_mov_b32_e32 v83, v75
	v_fmac_f32_e32 v70, 0xbf27a4f4, v68
	v_fmac_f32_e32 v83, 0xbf27a4f4, v69
	v_add_f32_e32 v70, v70, v72
	v_fma_f32 v72, v69, s15, -v75
	v_mul_f32_e32 v75, 0x3e903f40, v65
	v_add_f32_e32 v81, v83, v81
	v_add_f32_e32 v72, v72, v80
	v_fma_f32 v80, v68, s16, -v75
	v_mul_f32_e32 v83, 0x3e903f40, v58
	v_add_f32_e32 v80, v80, v84
	v_mov_b32_e32 v84, v83
	v_fmac_f32_e32 v75, 0xbf75a155, v68
	v_fmac_f32_e32 v84, 0xbf75a155, v69
	v_add_f32_e32 v75, v75, v82
	v_fma_f32 v82, v69, s16, -v83
	v_mul_f32_e32 v83, 0x3f7d64f0, v65
	v_add_f32_e32 v84, v84, v91
	v_add_f32_e32 v82, v82, v86
	v_fma_f32 v86, v68, s14, -v83
	v_mul_f32_e32 v91, 0x3f7d64f0, v58
	v_add_f32_e32 v86, v86, v101
	v_mov_b32_e32 v101, v91
	v_fma_f32 v91, v69, s14, -v91
	v_mul_f32_e32 v58, 0x3f0a6770, v58
	v_add_f32_e32 v91, v91, v103
	v_mov_b32_e32 v103, v58
	v_fma_f32 v58, v69, s12, -v58
	v_fmac_f32_e32 v83, 0xbe11bafb, v68
	v_mul_f32_e32 v65, 0x3f0a6770, v65
	v_add_f32_e32 v49, v58, v49
	v_add_f32_e32 v58, v59, v64
	v_sub_f32_e32 v59, v59, v64
	v_sub_f32_e32 v64, v85, v104
	v_add_f32_e32 v83, v83, v99
	v_fma_f32 v99, v68, s12, -v65
	v_fmac_f32_e32 v65, 0x3f575c64, v68
	v_mul_f32_e32 v68, 0xbf7d64f0, v64
	v_fmac_f32_e32 v101, 0xbe11bafb, v69
	v_fmac_f32_e32 v103, 0x3f575c64, v69
	v_fma_f32 v69, v58, s14, -v68
	v_add_f32_e32 v48, v65, v48
	v_add_f32_e32 v65, v85, v104
	;; [unrolled: 1-line block ×3, first 2 shown]
	v_mul_f32_e32 v71, 0xbf7d64f0, v59
	v_fmac_f32_e32 v68, 0xbe11bafb, v58
	v_add_f32_e32 v67, v68, v67
	v_fma_f32 v68, v65, s14, -v71
	v_add_f32_e32 v66, v68, v66
	v_mul_f32_e32 v68, 0x3e903f40, v64
	v_mov_b32_e32 v85, v71
	v_fma_f32 v71, v58, s16, -v68
	v_add_f32_e32 v71, v71, v73
	v_mul_f32_e32 v73, 0x3e903f40, v59
	v_fmac_f32_e32 v68, 0xbf75a155, v58
	v_add_f32_e32 v68, v68, v70
	v_fma_f32 v70, v65, s16, -v73
	v_fmac_f32_e32 v85, 0xbe11bafb, v65
	v_add_f32_e32 v70, v70, v72
	v_mul_f32_e32 v72, 0x3f68dda4, v64
	v_add_f32_e32 v74, v85, v74
	v_mov_b32_e32 v85, v73
	v_fma_f32 v73, v58, s13, -v72
	v_fmac_f32_e32 v85, 0xbf75a155, v65
	v_add_f32_e32 v73, v73, v80
	v_mul_f32_e32 v80, 0x3f68dda4, v59
	v_add_f32_e32 v81, v85, v81
	v_mov_b32_e32 v85, v80
	v_fmac_f32_e32 v72, 0x3ed4b147, v58
	v_fmac_f32_e32 v85, 0x3ed4b147, v65
	v_add_f32_e32 v72, v72, v75
	v_fma_f32 v75, v65, s13, -v80
	v_mul_f32_e32 v80, 0xbf0a6770, v64
	v_add_f32_e32 v84, v85, v84
	v_add_f32_e32 v75, v75, v82
	v_fma_f32 v82, v58, s12, -v80
	v_mul_f32_e32 v85, 0xbf0a6770, v59
	v_fmac_f32_e32 v80, 0x3f575c64, v58
	v_mul_f32_e32 v64, 0xbf4178ce, v64
	v_mul_f32_e32 v59, 0xbf4178ce, v59
	v_add_f32_e32 v82, v82, v86
	v_mov_b32_e32 v86, v85
	v_add_f32_e32 v80, v80, v83
	v_fma_f32 v83, v65, s12, -v85
	v_fma_f32 v85, v58, s15, -v64
	v_fmac_f32_e32 v64, 0xbf27a4f4, v58
	v_fma_f32 v58, v65, s15, -v59
	v_add_f32_e32 v49, v58, v49
	v_add_f32_e32 v58, v60, v63
	v_sub_f32_e32 v60, v60, v63
	v_sub_f32_e32 v63, v87, v102
	v_add_f32_e32 v83, v83, v91
	v_mov_b32_e32 v91, v59
	v_add_f32_e32 v48, v64, v48
	v_mul_f32_e32 v64, 0xbf4178ce, v63
	v_fmac_f32_e32 v86, 0x3f575c64, v65
	v_fmac_f32_e32 v91, 0xbf27a4f4, v65
	v_fma_f32 v65, v58, s15, -v64
	v_add_f32_e32 v59, v87, v102
	v_add_f32_e32 v65, v65, v69
	v_mul_f32_e32 v69, 0xbf4178ce, v60
	v_fmac_f32_e32 v64, 0xbf27a4f4, v58
	v_add_f32_e32 v64, v64, v67
	v_fma_f32 v67, v59, s15, -v69
	v_add_f32_e32 v66, v67, v66
	v_mul_f32_e32 v67, 0x3f7d64f0, v63
	v_mov_b32_e32 v87, v69
	v_fma_f32 v69, v58, s14, -v67
	v_add_f32_e32 v69, v69, v71
	v_mul_f32_e32 v71, 0x3f7d64f0, v60
	v_fmac_f32_e32 v67, 0xbe11bafb, v58
	v_add_f32_e32 v67, v67, v68
	v_fma_f32 v68, v59, s14, -v71
	v_fmac_f32_e32 v87, 0xbf27a4f4, v59
	v_add_f32_e32 v68, v68, v70
	v_mul_f32_e32 v70, 0xbf0a6770, v63
	v_add_f32_e32 v74, v87, v74
	v_mov_b32_e32 v87, v71
	v_fma_f32 v71, v58, s12, -v70
	v_fmac_f32_e32 v87, 0xbe11bafb, v59
	v_add_f32_e32 v71, v71, v73
	v_mul_f32_e32 v73, 0xbf0a6770, v60
	v_fmac_f32_e32 v70, 0x3f575c64, v58
	v_add_f32_e32 v81, v87, v81
	v_mov_b32_e32 v87, v73
	v_add_f32_e32 v70, v70, v72
	v_fma_f32 v72, v59, s12, -v73
	v_mul_f32_e32 v73, 0xbe903f40, v63
	v_add_f32_e32 v72, v72, v75
	v_fma_f32 v75, v58, s16, -v73
	v_add_f32_e32 v75, v75, v82
	v_mul_f32_e32 v82, 0xbe903f40, v60
	v_fmac_f32_e32 v73, 0xbf75a155, v58
	v_add_f32_e32 v99, v99, v107
	v_fmac_f32_e32 v87, 0x3f575c64, v59
	v_add_f32_e32 v73, v73, v80
	v_fma_f32 v80, v59, s16, -v82
	v_mul_f32_e32 v63, 0x3f68dda4, v63
	v_mul_f32_e32 v60, 0x3f68dda4, v60
	v_add_f32_e32 v101, v101, v105
	v_add_f32_e32 v103, v103, v108
	;; [unrolled: 1-line block ×4, first 2 shown]
	v_mov_b32_e32 v87, v82
	v_add_f32_e32 v80, v80, v83
	v_fma_f32 v82, v58, s13, -v63
	v_mov_b32_e32 v83, v60
	v_fmac_f32_e32 v63, 0x3ed4b147, v58
	v_add_f32_e32 v86, v86, v101
	v_add_f32_e32 v91, v91, v103
	v_fmac_f32_e32 v87, 0xbf75a155, v59
	v_add_f32_e32 v82, v82, v85
	v_fmac_f32_e32 v83, 0x3ed4b147, v59
	v_add_f32_e32 v85, v63, v48
	v_fma_f32 v48, v59, s13, -v60
	v_add_f32_e32 v99, v92, v100
	v_sub_f32_e32 v92, v92, v100
	v_add_f32_e32 v86, v87, v86
	v_add_f32_e32 v83, v83, v91
	;; [unrolled: 1-line block ×4, first 2 shown]
	v_mul_f32_e32 v48, 0xbe903f40, v92
	v_sub_f32_e32 v101, v61, v62
	v_fma_f32 v49, v91, s16, -v48
	v_add_f32_e32 v58, v49, v65
	v_mul_f32_e32 v49, 0xbe903f40, v101
	v_mul_f32_e32 v62, 0x3f0a6770, v92
	v_mov_b32_e32 v59, v49
	v_fmac_f32_e32 v48, 0xbf75a155, v91
	v_fma_f32 v49, v99, s16, -v49
	v_fma_f32 v60, v91, s12, -v62
	v_mul_f32_e32 v63, 0x3f0a6770, v101
	v_fmac_f32_e32 v62, 0x3f575c64, v91
	v_add_f32_e32 v48, v48, v64
	v_add_f32_e32 v49, v49, v66
	v_add_f32_e32 v66, v62, v67
	v_fma_f32 v62, v99, s12, -v63
	v_mul_f32_e32 v64, 0xbf4178ce, v92
	v_add_f32_e32 v67, v62, v68
	v_fma_f32 v62, v91, s15, -v64
	v_fmac_f32_e32 v64, 0xbf27a4f4, v91
	v_add_f32_e32 v64, v64, v70
	v_mul_f32_e32 v70, 0x3f68dda4, v92
	v_fmac_f32_e32 v59, 0xbf75a155, v99
	v_mul_f32_e32 v65, 0xbf4178ce, v101
	v_fma_f32 v68, v91, s13, -v70
	v_fmac_f32_e32 v70, 0x3ed4b147, v91
	v_add_f32_e32 v59, v59, v74
	v_mov_b32_e32 v61, v63
	v_add_f32_e32 v62, v62, v71
	v_mov_b32_e32 v63, v65
	v_fma_f32 v65, v99, s15, -v65
	v_mul_f32_e32 v71, 0x3f68dda4, v101
	v_add_f32_e32 v74, v70, v73
	v_mul_f32_e32 v73, 0xbf7d64f0, v101
	v_add_f32_e32 v60, v60, v69
	v_add_f32_e32 v65, v65, v72
	v_mov_b32_e32 v69, v71
	v_fma_f32 v70, v99, s13, -v71
	v_mul_f32_e32 v72, 0xbf7d64f0, v92
	v_mov_b32_e32 v71, v73
	v_add_f32_e32 v68, v68, v75
	v_fmac_f32_e32 v69, 0x3ed4b147, v99
	v_add_f32_e32 v75, v70, v80
	v_fma_f32 v70, v91, s14, -v72
	v_fmac_f32_e32 v71, 0xbe11bafb, v99
	v_fmac_f32_e32 v61, 0x3f575c64, v99
	;; [unrolled: 1-line block ×3, first 2 shown]
	v_add_f32_e32 v69, v69, v86
	v_add_f32_e32 v70, v70, v82
	;; [unrolled: 1-line block ×3, first 2 shown]
	v_fmac_f32_e32 v72, 0xbe11bafb, v91
	v_fma_f32 v73, v99, s14, -v73
	v_add_u32_e32 v80, 0xc00, v93
	v_add_f32_e32 v61, v61, v81
	v_add_f32_e32 v63, v63, v84
	;; [unrolled: 1-line block ×4, first 2 shown]
	ds_write_b64 v93, v[56:57]
	ds_write_b64 v93, v[58:59] offset:952
	v_add_u32_e32 v81, 0x400, v93
	ds_write2_b64 v80, v[68:69], v[70:71] offset0:92 offset1:211
	v_add_u32_e32 v82, 0x1400, v93
	v_add_u32_e32 v80, 0x1c00, v93
	ds_write2_b64 v81, v[60:61], v[62:63] offset0:110 offset1:229
	ds_write2_b64 v82, v[72:73], v[74:75] offset0:74 offset1:193
	;; [unrolled: 1-line block ×3, first 2 shown]
	ds_write_b64 v93, v[48:49] offset:9520
	s_waitcnt lgkmcnt(0)
	s_barrier
	s_and_saveexec_b64 s[12:13], s[0:1]
	s_cbranch_execz .LBB0_13
; %bb.12:
	v_mov_b32_e32 v83, s9
	v_add_co_u32_e32 v87, vcc, s8, v93
	v_addc_co_u32_e32 v99, vcc, 0, v83, vcc
	v_add_co_u32_e32 v83, vcc, 0x28e8, v87
	v_addc_co_u32_e32 v84, vcc, 0, v99, vcc
	v_add_co_u32_e32 v85, vcc, 0x2000, v87
	v_addc_co_u32_e32 v86, vcc, 0, v99, vcc
	s_movk_i32 s14, 0x3000
	global_load_dwordx2 v[91:92], v[85:86], off offset:2280
	global_load_dwordx2 v[119:120], v[83:84], off offset:616
	;; [unrolled: 1-line block ×6, first 2 shown]
	v_add_co_u32_e32 v85, vcc, s14, v87
	v_addc_co_u32_e32 v86, vcc, 0, v99, vcc
	global_load_dwordx2 v[129:130], v[85:86], off offset:2496
	global_load_dwordx2 v[131:132], v[83:84], off offset:3696
	global_load_dwordx2 v[133:134], v[85:86], off offset:3112
	global_load_dwordx2 v[135:136], v[85:86], off offset:3728
	s_movk_i32 s14, 0x4000
	v_add_co_u32_e32 v83, vcc, s14, v87
	v_addc_co_u32_e32 v84, vcc, 0, v99, vcc
	global_load_dwordx2 v[137:138], v[83:84], off offset:248
	global_load_dwordx2 v[139:140], v[83:84], off offset:864
	global_load_dwordx2 v[141:142], v[83:84], off offset:1480
	global_load_dwordx2 v[143:144], v[83:84], off offset:2096
	global_load_dwordx2 v[145:146], v[83:84], off offset:2712
	ds_read_b64 v[85:86], v93
	global_load_dwordx2 v[147:148], v[83:84], off offset:3328
	global_load_dwordx2 v[149:150], v[83:84], off offset:3944
	s_waitcnt vmcnt(16) lgkmcnt(0)
	v_mul_f32_e32 v83, v86, v92
	v_mul_f32_e32 v84, v85, v92
	v_fma_f32 v83, v85, v91, -v83
	v_fmac_f32_e32 v84, v86, v91
	ds_write_b64 v93, v[83:84]
	ds_read2_b64 v[83:86], v93 offset0:77 offset1:154
	ds_read2_b64 v[99:102], v81 offset0:103 offset1:180
	;; [unrolled: 1-line block ×6, first 2 shown]
	s_waitcnt vmcnt(15) lgkmcnt(5)
	v_mul_f32_e32 v91, v84, v120
	v_mul_f32_e32 v92, v83, v120
	s_waitcnt vmcnt(14)
	v_mul_f32_e32 v151, v86, v122
	v_mul_f32_e32 v120, v85, v122
	s_waitcnt vmcnt(13) lgkmcnt(4)
	v_mul_f32_e32 v152, v100, v124
	v_mul_f32_e32 v87, v99, v124
	s_waitcnt vmcnt(12)
	v_mul_f32_e32 v153, v102, v126
	v_mul_f32_e32 v122, v101, v126
	;; [unrolled: 6-line block ×3, first 2 shown]
	s_waitcnt lgkmcnt(2)
	v_mul_f32_e32 v156, v108, v130
	v_mul_f32_e32 v128, v107, v130
	s_waitcnt vmcnt(8)
	v_mul_f32_e32 v157, v110, v134
	v_mul_f32_e32 v130, v109, v134
	v_fma_f32 v91, v83, v119, -v91
	v_fmac_f32_e32 v92, v84, v119
	v_fma_f32 v119, v85, v121, -v151
	v_fmac_f32_e32 v120, v86, v121
	s_waitcnt vmcnt(7) lgkmcnt(1)
	v_mul_f32_e32 v134, v112, v136
	v_mul_f32_e32 v132, v111, v136
	s_waitcnt vmcnt(6)
	v_mul_f32_e32 v136, v114, v138
	v_fma_f32 v86, v99, v123, -v152
	v_fmac_f32_e32 v87, v100, v123
	v_fma_f32 v121, v101, v125, -v153
	v_fmac_f32_e32 v122, v102, v125
	v_fma_f32 v123, v103, v127, -v154
	v_fmac_f32_e32 v124, v104, v127
	v_fma_f32 v125, v105, v131, -v155
	v_fmac_f32_e32 v126, v106, v131
	v_fma_f32 v127, v107, v129, -v156
	v_fmac_f32_e32 v128, v108, v129
	v_fma_f32 v129, v109, v133, -v157
	v_fmac_f32_e32 v130, v110, v133
	ds_write2_b64 v93, v[91:92], v[119:120] offset0:77 offset1:154
	ds_write2_b64 v81, v[86:87], v[121:122] offset0:103 offset1:180
	;; [unrolled: 1-line block ×4, first 2 shown]
	v_mul_f32_e32 v79, v113, v138
	v_fma_f32 v131, v111, v135, -v134
	v_fmac_f32_e32 v132, v112, v135
	v_fma_f32 v78, v113, v137, -v136
	v_fmac_f32_e32 v79, v114, v137
	ds_write2_b64 v82, v[131:132], v[78:79] offset0:53 offset1:130
	ds_read2_b64 v[81:84], v80 offset0:105 offset1:182
	s_waitcnt vmcnt(5) lgkmcnt(6)
	v_mul_f32_e32 v78, v116, v140
	v_mul_f32_e32 v79, v115, v140
	s_waitcnt vmcnt(4)
	v_mul_f32_e32 v85, v118, v142
	v_mul_f32_e32 v86, v117, v142
	ds_read2_b64 v[99:102], v76 offset0:131 offset1:208
	v_fma_f32 v78, v115, v139, -v78
	v_fmac_f32_e32 v79, v116, v139
	v_fma_f32 v85, v117, v141, -v85
	v_fmac_f32_e32 v86, v118, v141
	ds_write2_b64 v77, v[78:79], v[85:86] offset0:79 offset1:156
	s_waitcnt vmcnt(3) lgkmcnt(2)
	v_mul_f32_e32 v78, v81, v144
	v_mul_f32_e32 v77, v82, v144
	v_fmac_f32_e32 v78, v82, v143
	s_waitcnt vmcnt(2)
	v_mul_f32_e32 v79, v84, v146
	v_mul_f32_e32 v82, v83, v146
	v_fma_f32 v77, v81, v143, -v77
	v_fma_f32 v81, v83, v145, -v79
	v_fmac_f32_e32 v82, v84, v145
	ds_write2_b64 v80, v[77:78], v[81:82] offset0:105 offset1:182
	s_waitcnt vmcnt(1) lgkmcnt(2)
	v_mul_f32_e32 v77, v100, v148
	v_mul_f32_e32 v78, v99, v148
	s_waitcnt vmcnt(0)
	v_mul_f32_e32 v79, v102, v150
	v_mul_f32_e32 v80, v101, v150
	v_fma_f32 v77, v99, v147, -v77
	v_fmac_f32_e32 v78, v100, v147
	v_fma_f32 v79, v101, v149, -v79
	v_fmac_f32_e32 v80, v102, v149
	ds_write2_b64 v76, v[77:78], v[79:80] offset0:131 offset1:208
.LBB0_13:
	s_or_b64 exec, exec, s[12:13]
	s_waitcnt lgkmcnt(0)
	s_barrier
	s_and_saveexec_b64 s[12:13], s[0:1]
	s_cbranch_execz .LBB0_15
; %bb.14:
	v_add_u32_e32 v0, 0x800, v93
	ds_read2_b64 v[56:59], v93 offset1:77
	ds_read2_b64 v[60:63], v93 offset0:154 offset1:231
	ds_read2_b64 v[68:71], v0 offset0:52 offset1:129
	v_add_u32_e32 v0, 0xc00, v93
	ds_read2_b64 v[72:75], v0 offset0:78 offset1:155
	v_add_u32_e32 v0, 0x1000, v93
	;; [unrolled: 2-line block ×3, first 2 shown]
	ds_read2_b64 v[48:51], v0 offset0:2 offset1:79
	ds_read2_b64 v[52:55], v0 offset0:156 offset1:233
	v_add_u32_e32 v0, 0x2000, v93
	ds_read2_b64 v[0:3], v0 offset0:54 offset1:131
	ds_read_b64 v[89:90], v93 offset:9856
.LBB0_15:
	s_or_b64 exec, exec, s[12:13]
	s_waitcnt lgkmcnt(0)
	v_sub_f32_e32 v106, v59, v90
	v_add_f32_e32 v99, v89, v58
	v_add_f32_e32 v108, v90, v59
	s_mov_b32 s14, 0x3dbcf732
	v_mul_f32_e32 v120, 0xbf7ee86f, v106
	v_sub_f32_e32 v110, v61, v3
	v_mul_f32_e32 v123, 0x3dbcf732, v108
	v_fma_f32 v76, v99, s14, -v120
	s_mov_b32 s18, 0xbf7ba420
	v_add_f32_e32 v101, v2, v60
	v_add_f32_e32 v112, v3, v61
	v_mul_f32_e32 v128, 0xbe3c28d5, v110
	v_sub_f32_e32 v100, v58, v89
	v_add_f32_e32 v76, v56, v76
	v_mov_b32_e32 v77, v123
	v_mul_f32_e32 v131, 0xbf7ba420, v112
	v_fma_f32 v103, v101, s18, -v128
	v_fmac_f32_e32 v77, 0xbf7ee86f, v100
	s_mov_b32 s15, 0xbe8c1d8e
	v_mul_f32_e32 v126, 0xbf763a35, v106
	v_sub_f32_e32 v102, v60, v2
	v_add_f32_e32 v76, v103, v76
	v_mov_b32_e32 v103, v131
	v_add_f32_e32 v77, v57, v77
	v_mul_f32_e32 v129, 0xbe8c1d8e, v108
	v_fma_f32 v78, v99, s15, -v126
	s_mov_b32 s17, 0xbf59a7d5
	v_fmac_f32_e32 v103, 0xbe3c28d5, v102
	v_mul_f32_e32 v133, 0x3f06c442, v110
	v_add_f32_e32 v78, v56, v78
	v_mov_b32_e32 v79, v129
	v_add_f32_e32 v77, v103, v77
	v_mul_f32_e32 v137, 0xbf59a7d5, v112
	v_fma_f32 v103, v101, s17, -v133
	v_fmac_f32_e32 v79, 0xbf763a35, v100
	s_mov_b32 s16, 0xbf1a4643
	v_mul_f32_e32 v132, 0xbf4c4adb, v106
	v_add_f32_e32 v78, v103, v78
	v_mov_b32_e32 v103, v137
	v_add_f32_e32 v79, v57, v79
	v_mul_f32_e32 v135, 0xbf1a4643, v108
	v_fma_f32 v80, v99, s16, -v132
	v_fmac_f32_e32 v103, 0x3f06c442, v102
	v_mul_f32_e32 v140, 0x3f763a35, v110
	v_add_f32_e32 v80, v56, v80
	v_mov_b32_e32 v81, v135
	v_add_f32_e32 v79, v103, v79
	v_mul_f32_e32 v143, 0xbe8c1d8e, v112
	v_fma_f32 v103, v101, s15, -v140
	v_fmac_f32_e32 v81, 0xbf4c4adb, v100
	v_add_f32_e32 v80, v103, v80
	v_mov_b32_e32 v103, v143
	v_add_f32_e32 v81, v57, v81
	v_mul_f32_e32 v82, 0xbf06c442, v106
	v_fmac_f32_e32 v103, 0x3f763a35, v102
	v_mov_b32_e32 v83, v82
	v_add_f32_e32 v81, v103, v81
	v_mul_f32_e32 v103, 0x3f65296c, v110
	v_fmac_f32_e32 v83, 0xbf59a7d5, v99
	v_mov_b32_e32 v104, v103
	v_add_f32_e32 v83, v56, v83
	v_mul_f32_e32 v84, 0xbf59a7d5, v108
	v_fma_f32 v82, v99, s17, -v82
	s_mov_b32 s19, 0x3ee437d1
	v_fmac_f32_e32 v104, 0x3ee437d1, v101
	v_mov_b32_e32 v85, v84
	v_add_f32_e32 v82, v56, v82
	v_fmac_f32_e32 v84, 0xbf06c442, v100
	v_mul_f32_e32 v86, 0xbe3c28d5, v106
	v_add_f32_e32 v83, v104, v83
	v_mul_f32_e32 v104, 0x3ee437d1, v112
	v_fma_f32 v103, v101, s19, -v103
	v_add_f32_e32 v84, v57, v84
	v_mov_b32_e32 v87, v86
	v_mov_b32_e32 v105, v104
	v_add_f32_e32 v82, v103, v82
	v_fmac_f32_e32 v104, 0x3f65296c, v102
	v_mul_f32_e32 v103, 0x3eb8f4ab, v110
	v_fmac_f32_e32 v87, 0xbf7ba420, v99
	v_add_f32_e32 v84, v104, v84
	v_mov_b32_e32 v104, v103
	v_fmac_f32_e32 v85, 0x3f06c442, v100
	v_add_f32_e32 v87, v56, v87
	v_mul_f32_e32 v91, 0xbf7ba420, v108
	v_fmac_f32_e32 v104, 0x3f6eb680, v101
	v_add_f32_e32 v85, v57, v85
	v_mov_b32_e32 v92, v91
	v_fma_f32 v86, v99, s18, -v86
	v_fmac_f32_e32 v105, 0xbf65296c, v102
	s_mov_b32 s20, 0x3f6eb680
	v_add_f32_e32 v87, v104, v87
	v_mul_f32_e32 v104, 0x3f6eb680, v112
	v_fmac_f32_e32 v92, 0x3e3c28d5, v100
	v_add_f32_e32 v86, v56, v86
	v_add_f32_e32 v85, v105, v85
	v_mov_b32_e32 v105, v104
	v_fma_f32 v103, v101, s20, -v103
	v_sub_f32_e32 v114, v63, v1
	v_add_f32_e32 v92, v57, v92
	v_fmac_f32_e32 v91, 0xbe3c28d5, v100
	v_fmac_f32_e32 v105, 0xbeb8f4ab, v102
	v_add_f32_e32 v86, v103, v86
	v_add_f32_e32 v103, v0, v62
	;; [unrolled: 1-line block ×3, first 2 shown]
	v_mul_f32_e32 v136, 0x3f763a35, v114
	v_add_f32_e32 v91, v57, v91
	v_add_f32_e32 v92, v105, v92
	v_fmac_f32_e32 v104, 0x3eb8f4ab, v102
	v_mul_f32_e32 v139, 0xbe8c1d8e, v116
	v_fma_f32 v105, v103, s15, -v136
	v_add_f32_e32 v91, v104, v91
	v_sub_f32_e32 v104, v62, v0
	v_add_f32_e32 v76, v105, v76
	v_mov_b32_e32 v105, v139
	v_fmac_f32_e32 v105, 0x3f763a35, v104
	s_mov_b32 s21, 0x3f3d2fb0
	v_mul_f32_e32 v142, 0x3f2c7751, v114
	v_add_f32_e32 v77, v105, v77
	v_mul_f32_e32 v146, 0x3f3d2fb0, v116
	v_fma_f32 v105, v103, s21, -v142
	v_add_f32_e32 v78, v105, v78
	v_mov_b32_e32 v105, v146
	v_fmac_f32_e32 v105, 0x3f2c7751, v104
	v_mul_f32_e32 v148, 0xbeb8f4ab, v114
	v_add_f32_e32 v79, v105, v79
	v_mul_f32_e32 v151, 0x3f6eb680, v116
	v_fma_f32 v105, v103, s20, -v148
	v_add_f32_e32 v80, v105, v80
	v_mov_b32_e32 v105, v151
	v_fmac_f32_e32 v105, 0xbeb8f4ab, v104
	v_add_f32_e32 v81, v105, v81
	v_mul_f32_e32 v105, 0xbf7ee86f, v114
	v_mov_b32_e32 v107, v105
	v_fmac_f32_e32 v107, 0x3dbcf732, v103
	v_add_f32_e32 v83, v107, v83
	v_mul_f32_e32 v107, 0x3dbcf732, v116
	v_fma_f32 v105, v103, s14, -v105
	v_mov_b32_e32 v109, v107
	v_add_f32_e32 v82, v105, v82
	v_fmac_f32_e32 v107, 0xbf7ee86f, v104
	v_mul_f32_e32 v105, 0xbf06c442, v114
	v_add_f32_e32 v84, v107, v84
	v_mov_b32_e32 v107, v105
	v_fmac_f32_e32 v107, 0xbf59a7d5, v103
	v_fmac_f32_e32 v109, 0x3f7ee86f, v104
	v_add_f32_e32 v87, v107, v87
	v_mul_f32_e32 v107, 0xbf59a7d5, v116
	v_add_f32_e32 v85, v109, v85
	v_mov_b32_e32 v109, v107
	v_fma_f32 v105, v103, s17, -v105
	v_sub_f32_e32 v118, v69, v55
	v_fmac_f32_e32 v109, 0x3f06c442, v104
	v_add_f32_e32 v86, v105, v86
	v_add_f32_e32 v105, v54, v68
	v_add_f32_e32 v121, v55, v69
	v_mul_f32_e32 v144, 0x3eb8f4ab, v118
	v_add_f32_e32 v92, v109, v92
	v_fmac_f32_e32 v107, 0xbf06c442, v104
	v_mul_f32_e32 v147, 0x3f6eb680, v121
	v_fma_f32 v109, v105, s20, -v144
	v_add_f32_e32 v91, v107, v91
	v_sub_f32_e32 v107, v68, v54
	v_add_f32_e32 v76, v109, v76
	v_mov_b32_e32 v109, v147
	v_fmac_f32_e32 v109, 0x3eb8f4ab, v107
	v_mul_f32_e32 v150, 0xbf65296c, v118
	v_add_f32_e32 v77, v109, v77
	v_mul_f32_e32 v153, 0x3ee437d1, v121
	v_fma_f32 v109, v105, s19, -v150
	v_add_f32_e32 v78, v109, v78
	v_mov_b32_e32 v109, v153
	v_fmac_f32_e32 v109, 0xbf65296c, v107
	v_mul_f32_e32 v155, 0xbf06c442, v118
	v_add_f32_e32 v79, v109, v79
	v_mul_f32_e32 v157, 0xbf59a7d5, v121
	v_fma_f32 v109, v105, s17, -v155
	v_add_f32_e32 v80, v109, v80
	v_mov_b32_e32 v109, v157
	v_fmac_f32_e32 v109, 0xbf06c442, v107
	v_add_f32_e32 v81, v109, v81
	v_mul_f32_e32 v109, 0x3f4c4adb, v118
	v_mov_b32_e32 v111, v109
	v_fmac_f32_e32 v111, 0xbf1a4643, v105
	v_add_f32_e32 v83, v111, v83
	v_mul_f32_e32 v111, 0xbf1a4643, v121
	v_fma_f32 v109, v105, s16, -v109
	v_mov_b32_e32 v113, v111
	v_add_f32_e32 v82, v109, v82
	v_fmac_f32_e32 v111, 0x3f4c4adb, v107
	v_mul_f32_e32 v109, 0x3f2c7751, v118
	v_add_f32_e32 v84, v111, v84
	v_mov_b32_e32 v111, v109
	v_fmac_f32_e32 v111, 0x3f3d2fb0, v105
	v_fmac_f32_e32 v113, 0xbf4c4adb, v107
	v_add_f32_e32 v87, v111, v87
	v_mul_f32_e32 v111, 0x3f3d2fb0, v121
	v_add_f32_e32 v85, v113, v85
	v_mov_b32_e32 v113, v111
	v_fma_f32 v109, v105, s21, -v109
	v_sub_f32_e32 v124, v71, v53
	v_fmac_f32_e32 v113, 0xbf2c7751, v107
	v_add_f32_e32 v86, v109, v86
	v_add_f32_e32 v109, v52, v70
	v_add_f32_e32 v127, v53, v71
	v_mul_f32_e32 v152, 0xbf65296c, v124
	v_add_f32_e32 v92, v113, v92
	v_fmac_f32_e32 v111, 0x3f2c7751, v107
	v_mul_f32_e32 v154, 0x3ee437d1, v127
	v_fma_f32 v113, v109, s19, -v152
	v_add_f32_e32 v91, v111, v91
	v_sub_f32_e32 v111, v70, v52
	v_add_f32_e32 v76, v113, v76
	v_mov_b32_e32 v113, v154
	v_fmac_f32_e32 v113, 0xbf65296c, v111
	;; [unrolled: 49-line block ×4, first 2 shown]
	v_mul_f32_e32 v168, 0xbeb8f4ab, v138
	v_add_f32_e32 v77, v122, v77
	v_mul_f32_e32 v171, 0x3f6eb680, v141
	v_fma_f32 v122, v117, s20, -v168
	v_add_f32_e32 v177, v122, v78
	v_mov_b32_e32 v78, v171
	v_fmac_f32_e32 v78, 0xbeb8f4ab, v119
	v_mul_f32_e32 v173, 0xbe3c28d5, v138
	v_add_f32_e32 v178, v78, v79
	v_mul_f32_e32 v175, 0xbf7ba420, v141
	v_fma_f32 v78, v117, s18, -v173
	v_add_f32_e32 v80, v78, v80
	v_mov_b32_e32 v78, v175
	v_fmac_f32_e32 v78, 0xbe3c28d5, v119
	v_add_f32_e32 v81, v78, v81
	v_mul_f32_e32 v78, 0x3f2c7751, v138
	v_mov_b32_e32 v79, v78
	v_fmac_f32_e32 v79, 0x3f3d2fb0, v117
	v_add_f32_e32 v179, v79, v83
	v_mul_f32_e32 v79, 0x3f3d2fb0, v141
	v_fma_f32 v78, v117, s21, -v78
	v_mov_b32_e32 v83, v79
	v_add_f32_e32 v180, v78, v82
	v_fmac_f32_e32 v79, 0x3f2c7751, v119
	v_mul_f32_e32 v78, 0xbf763a35, v138
	v_sub_f32_e32 v145, v65, v67
	v_add_f32_e32 v84, v79, v84
	v_mov_b32_e32 v79, v78
	v_fma_f32 v78, v117, s15, -v78
	v_add_f32_e32 v122, v66, v64
	v_add_f32_e32 v149, v67, v65
	v_mul_f32_e32 v170, 0x3f2c7751, v145
	v_fmac_f32_e32 v79, 0xbe8c1d8e, v117
	v_add_f32_e32 v86, v78, v86
	v_mul_f32_e32 v172, 0x3f3d2fb0, v149
	v_fma_f32 v78, v122, s21, -v170
	v_add_f32_e32 v87, v79, v87
	v_mul_f32_e32 v79, 0xbe8c1d8e, v141
	v_sub_f32_e32 v125, v64, v66
	v_add_f32_e32 v78, v78, v76
	v_mov_b32_e32 v76, v172
	v_mov_b32_e32 v82, v79
	v_fmac_f32_e32 v79, 0xbf763a35, v119
	v_fmac_f32_e32 v76, 0x3f2c7751, v125
	v_mul_f32_e32 v174, 0xbf4c4adb, v145
	v_mul_f32_e32 v176, 0xbf1a4643, v149
	v_add_f32_e32 v182, v79, v91
	v_add_f32_e32 v79, v76, v77
	v_fma_f32 v76, v122, s16, -v174
	v_mov_b32_e32 v77, v176
	v_fmac_f32_e32 v82, 0x3f763a35, v119
	v_add_f32_e32 v76, v76, v177
	v_fmac_f32_e32 v77, 0xbf4c4adb, v125
	v_mul_f32_e32 v177, 0x3f65296c, v145
	v_add_f32_e32 v181, v82, v92
	v_add_f32_e32 v77, v77, v178
	v_mul_f32_e32 v178, 0x3ee437d1, v149
	v_fma_f32 v82, v122, s19, -v177
	v_add_f32_e32 v82, v82, v80
	v_mov_b32_e32 v80, v178
	v_fmac_f32_e32 v83, 0xbf2c7751, v119
	v_fmac_f32_e32 v80, 0x3f65296c, v125
	v_add_f32_e32 v85, v83, v85
	v_add_f32_e32 v83, v80, v81
	v_mul_f32_e32 v80, 0xbf763a35, v145
	v_mov_b32_e32 v81, v80
	v_fmac_f32_e32 v81, 0xbe8c1d8e, v122
	v_add_f32_e32 v91, v81, v179
	v_mul_f32_e32 v81, 0xbe8c1d8e, v149
	v_mov_b32_e32 v92, v81
	v_fmac_f32_e32 v81, 0xbf763a35, v125
	v_mul_f32_e32 v179, 0x3f7ee86f, v145
	v_add_f32_e32 v81, v81, v84
	v_mov_b32_e32 v84, v179
	v_fmac_f32_e32 v84, 0x3dbcf732, v122
	v_fmac_f32_e32 v92, 0x3f763a35, v125
	v_add_f32_e32 v84, v84, v87
	v_mul_f32_e32 v87, 0x3dbcf732, v149
	v_add_f32_e32 v92, v92, v85
	v_mov_b32_e32 v85, v87
	v_fma_f32 v80, v122, s15, -v80
	v_fmac_f32_e32 v85, 0xbf7ee86f, v125
	v_fma_f32 v179, v122, s14, -v179
	v_fmac_f32_e32 v87, 0x3f7ee86f, v125
	v_add_f32_e32 v80, v80, v180
	v_add_f32_e32 v85, v85, v181
	;; [unrolled: 1-line block ×4, first 2 shown]
	s_barrier
	s_and_saveexec_b64 s[12:13], s[0:1]
	s_cbranch_execz .LBB0_17
; %bb.16:
	v_mul_f32_e32 v184, 0xbf4c4adb, v100
	v_mul_f32_e32 v190, 0x3f763a35, v102
	v_sub_f32_e32 v135, v135, v184
	v_mul_f32_e32 v196, 0xbeb8f4ab, v104
	v_add_f32_e32 v135, v57, v135
	v_sub_f32_e32 v143, v143, v190
	v_mul_f32_e32 v202, 0xbf06c442, v107
	v_add_f32_e32 v135, v143, v135
	;; [unrolled: 3-line block ×5, first 2 shown]
	v_sub_f32_e32 v143, v169, v214
	v_mul_f32_e32 v183, 0xbf1a4643, v99
	v_mul_f32_e32 v226, 0x3f65296c, v125
	v_add_f32_e32 v135, v143, v135
	v_sub_f32_e32 v143, v175, v220
	v_mul_f32_e32 v189, 0xbe8c1d8e, v101
	v_add_f32_e32 v135, v143, v135
	v_sub_f32_e32 v143, v178, v226
	v_add_f32_e32 v132, v183, v132
	v_mul_f32_e32 v195, 0x3f6eb680, v103
	v_add_f32_e32 v178, v143, v135
	v_add_f32_e32 v132, v56, v132
	;; [unrolled: 1-line block ×3, first 2 shown]
	v_mul_f32_e32 v201, 0xbf59a7d5, v105
	v_add_f32_e32 v132, v135, v132
	v_add_f32_e32 v135, v195, v148
	v_mul_f32_e32 v207, 0x3dbcf732, v109
	v_add_f32_e32 v132, v135, v132
	v_add_f32_e32 v135, v201, v155
	;; [unrolled: 3-line block ×4, first 2 shown]
	v_mul_f32_e32 v182, 0xbf763a35, v100
	v_mul_f32_e32 v225, 0x3ee437d1, v122
	v_add_f32_e32 v132, v135, v132
	v_add_f32_e32 v135, v219, v173
	v_mul_f32_e32 v188, 0x3f06c442, v102
	v_add_f32_e32 v132, v135, v132
	v_add_f32_e32 v135, v225, v177
	v_sub_f32_e32 v129, v129, v182
	v_mul_f32_e32 v194, 0x3f2c7751, v104
	v_add_f32_e32 v177, v135, v132
	v_add_f32_e32 v129, v57, v129
	v_sub_f32_e32 v132, v137, v188
	v_mul_f32_e32 v200, 0xbf65296c, v107
	v_add_f32_e32 v129, v132, v129
	v_sub_f32_e32 v132, v146, v194
	v_mul_f32_e32 v206, 0xbe3c28d5, v111
	;; [unrolled: 3-line block ×5, first 2 shown]
	v_mul_f32_e32 v224, 0xbf4c4adb, v125
	v_add_f32_e32 v129, v132, v129
	v_sub_f32_e32 v132, v171, v218
	v_mul_f32_e32 v187, 0xbf59a7d5, v101
	v_add_f32_e32 v129, v132, v129
	v_sub_f32_e32 v132, v176, v224
	v_add_f32_e32 v126, v181, v126
	v_mul_f32_e32 v193, 0x3f3d2fb0, v103
	v_add_f32_e32 v143, v132, v129
	v_add_f32_e32 v126, v56, v126
	;; [unrolled: 1-line block ×3, first 2 shown]
	v_mul_f32_e32 v199, 0x3ee437d1, v105
	v_add_f32_e32 v126, v129, v126
	v_add_f32_e32 v129, v193, v142
	v_mul_f32_e32 v205, 0xbf7ba420, v109
	v_add_f32_e32 v126, v129, v126
	v_add_f32_e32 v129, v199, v150
	;; [unrolled: 3-line block ×4, first 2 shown]
	v_mul_f32_e32 v180, 0xbf7ee86f, v100
	v_mul_f32_e32 v223, 0xbf1a4643, v122
	v_add_f32_e32 v126, v129, v126
	v_add_f32_e32 v129, v217, v168
	v_mul_f32_e32 v186, 0xbe3c28d5, v102
	v_add_f32_e32 v126, v129, v126
	v_add_f32_e32 v129, v223, v174
	v_sub_f32_e32 v123, v123, v180
	v_mul_f32_e32 v192, 0x3f763a35, v104
	v_add_f32_e32 v142, v129, v126
	v_add_f32_e32 v123, v57, v123
	v_sub_f32_e32 v126, v131, v186
	v_mul_f32_e32 v198, 0x3eb8f4ab, v107
	v_add_f32_e32 v123, v126, v123
	v_sub_f32_e32 v126, v139, v192
	v_mul_f32_e32 v204, 0xbf65296c, v111
	;; [unrolled: 3-line block ×5, first 2 shown]
	v_mul_f32_e32 v222, 0x3f2c7751, v125
	v_add_f32_e32 v123, v126, v123
	v_sub_f32_e32 v126, v166, v216
	v_mul_f32_e32 v185, 0xbf7ba420, v101
	v_add_f32_e32 v123, v126, v123
	v_sub_f32_e32 v126, v172, v222
	v_add_f32_e32 v120, v179, v120
	v_mul_f32_e32 v191, 0xbe8c1d8e, v103
	v_add_f32_e32 v129, v126, v123
	v_add_f32_e32 v120, v56, v120
	;; [unrolled: 1-line block ×3, first 2 shown]
	v_mul_f32_e32 v197, 0x3f6eb680, v105
	v_add_f32_e32 v120, v123, v120
	v_add_f32_e32 v123, v191, v136
	v_mul_f32_e32 v203, 0x3ee437d1, v109
	v_add_f32_e32 v120, v123, v120
	v_add_f32_e32 v123, v197, v144
	;; [unrolled: 3-line block ×5, first 2 shown]
	v_add_f32_e32 v120, v123, v120
	v_add_f32_e32 v123, v221, v170
	;; [unrolled: 1-line block ×3, first 2 shown]
	v_mul_f32_e32 v123, 0x3ee437d1, v108
	v_mov_b32_e32 v120, v123
	v_mul_f32_e32 v126, 0xbf1a4643, v112
	v_fmac_f32_e32 v120, 0x3f65296c, v100
	v_mov_b32_e32 v131, v126
	v_add_f32_e32 v120, v57, v120
	v_fmac_f32_e32 v131, 0x3f4c4adb, v102
	v_mul_f32_e32 v133, 0xbf7ba420, v116
	v_add_f32_e32 v120, v131, v120
	v_mov_b32_e32 v131, v133
	v_fmac_f32_e32 v131, 0xbe3c28d5, v104
	v_mul_f32_e32 v137, 0xbe8c1d8e, v121
	v_add_f32_e32 v120, v131, v120
	v_mov_b32_e32 v131, v137
	;; [unrolled: 4-line block ×7, first 2 shown]
	v_mul_f32_e32 v148, 0xbf4c4adb, v110
	v_fmac_f32_e32 v120, 0x3ee437d1, v99
	v_mov_b32_e32 v131, v148
	v_add_f32_e32 v120, v56, v120
	v_fmac_f32_e32 v131, 0xbf1a4643, v101
	v_mul_f32_e32 v150, 0x3e3c28d5, v114
	v_add_f32_e32 v120, v131, v120
	v_mov_b32_e32 v131, v150
	v_add_f32_e32 v59, v59, v57
	v_fmac_f32_e32 v131, 0xbf7ba420, v103
	v_mul_f32_e32 v151, 0x3f763a35, v118
	v_add_f32_e32 v59, v61, v59
	v_add_f32_e32 v120, v131, v120
	v_mov_b32_e32 v131, v151
	v_add_f32_e32 v59, v63, v59
	v_fmac_f32_e32 v131, 0xbe8c1d8e, v105
	v_mul_f32_e32 v152, 0x3f2c7751, v124
	v_add_f32_e32 v59, v69, v59
	;; [unrolled: 6-line block ×6, first 2 shown]
	v_add_f32_e32 v131, v131, v120
	v_mov_b32_e32 v120, v156
	v_mul_f32_e32 v157, 0x3dbcf732, v112
	v_add_f32_e32 v49, v55, v49
	v_fmac_f32_e32 v120, 0x3f2c7751, v100
	v_mov_b32_e32 v135, v157
	v_add_f32_e32 v1, v1, v49
	v_add_f32_e32 v120, v57, v120
	v_fmac_f32_e32 v135, 0x3f7ee86f, v102
	v_mul_f32_e32 v158, 0xbf1a4643, v116
	v_add_f32_e32 v1, v3, v1
	v_add_f32_e32 v3, v58, v56
	;; [unrolled: 1-line block ×3, first 2 shown]
	v_mov_b32_e32 v135, v158
	v_add_f32_e32 v3, v60, v3
	v_fmac_f32_e32 v135, 0x3f4c4adb, v104
	v_mul_f32_e32 v159, 0xbf7ba420, v121
	v_add_f32_e32 v3, v62, v3
	v_add_f32_e32 v120, v135, v120
	v_mov_b32_e32 v135, v159
	v_add_f32_e32 v3, v68, v3
	v_fmac_f32_e32 v135, 0x3e3c28d5, v107
	v_mul_f32_e32 v160, 0xbf59a7d5, v127
	v_add_f32_e32 v3, v70, v3
	v_add_f32_e32 v120, v135, v120
	;; [unrolled: 6-line block ×6, first 2 shown]
	v_mov_b32_e32 v120, v164
	v_mul_f32_e32 v165, 0xbf7ee86f, v110
	v_add_f32_e32 v0, v0, v3
	v_fmac_f32_e32 v123, 0xbf65296c, v100
	v_fmac_f32_e32 v120, 0x3f3d2fb0, v99
	v_mov_b32_e32 v135, v165
	v_add_f32_e32 v0, v2, v0
	v_add_f32_e32 v2, v57, v123
	v_fmac_f32_e32 v126, 0xbf4c4adb, v102
	v_add_f32_e32 v120, v56, v120
	v_fmac_f32_e32 v135, 0x3dbcf732, v101
	v_mul_f32_e32 v166, 0xbf4c4adb, v114
	v_add_f32_e32 v2, v126, v2
	v_fmac_f32_e32 v133, 0x3e3c28d5, v104
	v_add_f32_e32 v120, v135, v120
	v_mov_b32_e32 v135, v166
	v_add_f32_e32 v2, v133, v2
	v_fmac_f32_e32 v137, 0x3f763a35, v107
	v_fmac_f32_e32 v135, 0xbf1a4643, v103
	v_mul_f32_e32 v167, 0xbe3c28d5, v118
	v_add_f32_e32 v2, v137, v2
	v_fmac_f32_e32 v139, 0x3f2c7751, v111
	v_add_f32_e32 v120, v135, v120
	v_mov_b32_e32 v135, v167
	v_add_f32_e32 v2, v139, v2
	v_fmac_f32_e32 v140, 0xbeb8f4ab, v115
	;; [unrolled: 8-line block ×3, first 2 shown]
	v_fmac_f32_e32 v135, 0xbf59a7d5, v109
	v_mul_f32_e32 v169, 0x3f763a35, v130
	v_add_f32_e32 v3, v146, v2
	v_fma_f32 v2, v99, s19, -v147
	v_add_f32_e32 v120, v135, v120
	v_mov_b32_e32 v135, v169
	v_add_f32_e32 v2, v56, v2
	v_fma_f32 v48, v101, s16, -v148
	v_fmac_f32_e32 v135, 0xbe8c1d8e, v113
	v_mul_f32_e32 v170, 0x3f65296c, v138
	v_add_f32_e32 v2, v48, v2
	v_fma_f32 v48, v103, s18, -v150
	v_add_f32_e32 v120, v135, v120
	v_mov_b32_e32 v135, v170
	v_add_f32_e32 v2, v48, v2
	v_fma_f32 v48, v105, s15, -v151
	;; [unrolled: 8-line block ×3, first 2 shown]
	v_fmac_f32_e32 v135, 0x3f6eb680, v122
	v_mul_f32_e32 v108, 0x3f6eb680, v108
	v_add_f32_e32 v2, v48, v2
	v_fma_f32 v48, v117, s14, -v154
	v_add_f32_e32 v135, v135, v120
	v_mov_b32_e32 v120, v108
	v_mul_f32_e32 v112, 0x3f3d2fb0, v112
	v_add_f32_e32 v2, v48, v2
	v_fma_f32 v48, v122, s17, -v155
	v_fmac_f32_e32 v156, 0xbf2c7751, v100
	v_fmac_f32_e32 v120, 0x3eb8f4ab, v100
	v_mov_b32_e32 v172, v112
	v_add_f32_e32 v2, v48, v2
	v_add_f32_e32 v48, v57, v156
	v_fmac_f32_e32 v157, 0xbf7ee86f, v102
	v_add_f32_e32 v120, v57, v120
	v_fmac_f32_e32 v172, 0x3f2c7751, v102
	v_mul_f32_e32 v116, 0x3ee437d1, v116
	v_add_f32_e32 v48, v157, v48
	v_fmac_f32_e32 v158, 0xbf4c4adb, v104
	v_add_f32_e32 v120, v172, v120
	v_mov_b32_e32 v172, v116
	v_add_f32_e32 v48, v158, v48
	v_fmac_f32_e32 v159, 0xbe3c28d5, v107
	v_fmac_f32_e32 v172, 0x3f65296c, v104
	v_add_f32_e32 v48, v159, v48
	v_fmac_f32_e32 v160, 0x3f06c442, v111
	v_add_f32_e32 v120, v172, v120
	v_mul_f32_e32 v172, 0x3dbcf732, v121
	v_add_f32_e32 v48, v160, v48
	v_fmac_f32_e32 v161, 0x3f763a35, v115
	v_mov_b32_e32 v121, v172
	v_add_f32_e32 v48, v161, v48
	v_fmac_f32_e32 v162, 0x3f65296c, v119
	v_fmac_f32_e32 v121, 0x3f7ee86f, v107
	v_mul_f32_e32 v127, 0xbe8c1d8e, v127
	v_add_f32_e32 v48, v162, v48
	v_fmac_f32_e32 v163, 0x3eb8f4ab, v125
	v_add_f32_e32 v120, v121, v120
	v_mov_b32_e32 v121, v127
	v_add_f32_e32 v49, v163, v48
	v_fma_f32 v48, v99, s21, -v164
	v_fmac_f32_e32 v121, 0x3f763a35, v111
	v_mul_f32_e32 v134, 0xbf1a4643, v134
	v_add_f32_e32 v48, v56, v48
	v_fma_f32 v50, v101, s14, -v165
	v_add_f32_e32 v120, v121, v120
	v_mov_b32_e32 v121, v134
	v_add_f32_e32 v48, v50, v48
	v_fma_f32 v50, v103, s16, -v166
	v_fmac_f32_e32 v121, 0x3f4c4adb, v115
	v_mul_f32_e32 v141, 0xbf59a7d5, v141
	v_add_f32_e32 v48, v50, v48
	v_fma_f32 v50, v105, s18, -v167
	;; [unrolled: 8-line block ×4, first 2 shown]
	v_fmac_f32_e32 v108, 0xbeb8f4ab, v100
	v_add_f32_e32 v121, v121, v120
	v_mov_b32_e32 v120, v106
	v_mul_f32_e32 v110, 0xbf2c7751, v110
	v_add_f32_e32 v48, v50, v48
	v_add_f32_e32 v50, v57, v108
	v_fmac_f32_e32 v112, 0xbf2c7751, v102
	v_fmac_f32_e32 v120, 0x3f6eb680, v99
	v_mov_b32_e32 v173, v110
	v_add_f32_e32 v50, v112, v50
	v_fmac_f32_e32 v116, 0xbf65296c, v104
	v_add_f32_e32 v120, v56, v120
	v_fmac_f32_e32 v173, 0x3f3d2fb0, v101
	v_mul_f32_e32 v114, 0xbf65296c, v114
	v_add_f32_e32 v50, v116, v50
	v_fmac_f32_e32 v172, 0xbf7ee86f, v107
	v_add_f32_e32 v120, v173, v120
	v_mov_b32_e32 v173, v114
	v_add_f32_e32 v50, v172, v50
	v_fmac_f32_e32 v127, 0xbf763a35, v111
	v_fmac_f32_e32 v173, 0x3ee437d1, v103
	v_mul_f32_e32 v118, 0xbf7ee86f, v118
	v_add_f32_e32 v50, v127, v50
	v_fmac_f32_e32 v134, 0xbf4c4adb, v115
	v_add_f32_e32 v120, v173, v120
	v_mov_b32_e32 v173, v118
	v_add_f32_e32 v50, v134, v50
	v_fmac_f32_e32 v141, 0xbf06c442, v119
	v_fmac_f32_e32 v173, 0x3dbcf732, v105
	v_mul_f32_e32 v124, 0xbf763a35, v124
	v_add_f32_e32 v50, v141, v50
	v_fmac_f32_e32 v149, 0xbe3c28d5, v125
	v_add_f32_e32 v120, v173, v120
	v_mov_b32_e32 v173, v124
	v_add_f32_e32 v51, v149, v50
	v_fma_f32 v50, v99, s20, -v106
	v_fmac_f32_e32 v173, 0xbe8c1d8e, v109
	v_mul_f32_e32 v130, 0xbf4c4adb, v130
	v_add_f32_e32 v50, v56, v50
	v_fma_f32 v52, v101, s21, -v110
	v_add_f32_e32 v120, v173, v120
	v_mov_b32_e32 v173, v130
	v_add_f32_e32 v50, v52, v50
	v_fma_f32 v52, v103, s19, -v114
	v_fmac_f32_e32 v173, 0xbf1a4643, v113
	v_mul_f32_e32 v138, 0xbf06c442, v138
	v_add_f32_e32 v50, v52, v50
	v_fma_f32 v52, v105, s14, -v118
	;; [unrolled: 8-line block ×3, first 2 shown]
	v_add_f32_e32 v120, v173, v120
	v_mov_b32_e32 v173, v145
	v_add_f32_e32 v50, v52, v50
	v_fma_f32 v52, v117, s17, -v138
	v_fmac_f32_e32 v173, 0xbf7ba420, v122
	v_add_f32_e32 v50, v52, v50
	v_fma_f32 v52, v122, s18, -v145
	v_add_f32_e32 v120, v173, v120
	v_add_f32_e32 v1, v90, v1
	;; [unrolled: 1-line block ×4, first 2 shown]
	v_lshlrev_b32_e32 v52, 3, v95
	ds_write2_b64 v52, v[0:1], v[120:121] offset1:1
	ds_write2_b64 v52, v[135:136], v[131:132] offset0:2 offset1:3
	ds_write2_b64 v52, v[128:129], v[142:143] offset0:4 offset1:5
	;; [unrolled: 1-line block ×7, first 2 shown]
	ds_write_b64 v52, v[50:51] offset:128
.LBB0_17:
	s_or_b64 exec, exec, s[12:13]
	v_add_u32_e32 v48, 0xa00, v93
	s_waitcnt lgkmcnt(0)
	s_barrier
	ds_read2_b64 v[52:55], v48 offset0:54 offset1:241
	v_add_u32_e32 v48, 0x1600, v93
	ds_read2_b64 v[0:3], v93 offset1:187
	ds_read2_b64 v[48:51], v48 offset0:44 offset1:231
	ds_read_b64 v[56:57], v93 offset:8976
	s_and_saveexec_b64 s[12:13], s[2:3]
	s_cbranch_execz .LBB0_19
; %bb.18:
	v_add_u32_e32 v58, 0x800, v93
	ds_read2_b64 v[84:87], v58 offset0:50 offset1:237
	v_add_u32_e32 v58, 0x1400, v93
	ds_read2_b64 v[80:83], v58 offset0:40 offset1:227
	v_add_u32_e32 v58, 0x2000, v93
	ds_read_b64 v[91:92], v93 offset:952
	ds_read2_b64 v[76:79], v58 offset0:30 offset1:217
.LBB0_19:
	s_or_b64 exec, exec, s[12:13]
	s_waitcnt lgkmcnt(2)
	v_mul_f32_e32 v58, v21, v3
	v_fmac_f32_e32 v58, v20, v2
	v_mul_f32_e32 v2, v21, v2
	v_mul_f32_e32 v21, v17, v55
	v_mul_f32_e32 v17, v17, v54
	v_fma_f32 v2, v20, v3, -v2
	v_mul_f32_e32 v3, v23, v53
	v_mul_f32_e32 v20, v23, v52
	v_fmac_f32_e32 v21, v16, v54
	v_fma_f32 v16, v16, v55, -v17
	s_waitcnt lgkmcnt(1)
	v_mul_f32_e32 v17, v19, v49
	v_mul_f32_e32 v19, v19, v48
	v_fmac_f32_e32 v3, v22, v52
	v_fma_f32 v20, v22, v53, -v20
	v_fmac_f32_e32 v17, v18, v48
	v_fma_f32 v18, v18, v49, -v19
	v_mul_f32_e32 v19, v25, v51
	v_mul_f32_e32 v22, v25, v50
	v_fmac_f32_e32 v19, v24, v50
	v_fma_f32 v22, v24, v51, -v22
	s_waitcnt lgkmcnt(0)
	v_mul_f32_e32 v23, v27, v57
	v_mul_f32_e32 v24, v27, v56
	v_fmac_f32_e32 v23, v26, v56
	v_fma_f32 v24, v26, v57, -v24
	v_add_f32_e32 v25, v58, v23
	v_add_f32_e32 v26, v2, v24
	v_sub_f32_e32 v2, v2, v24
	v_add_f32_e32 v24, v3, v19
	v_add_f32_e32 v27, v20, v22
	v_sub_f32_e32 v3, v3, v19
	v_sub_f32_e32 v19, v20, v22
	v_add_f32_e32 v20, v21, v17
	v_add_f32_e32 v22, v16, v18
	v_sub_f32_e32 v16, v18, v16
	v_add_f32_e32 v18, v24, v25
	v_sub_f32_e32 v17, v17, v21
	v_add_f32_e32 v21, v27, v26
	v_add_f32_e32 v18, v20, v18
	v_sub_f32_e32 v48, v24, v25
	v_sub_f32_e32 v25, v25, v20
	;; [unrolled: 1-line block ×3, first 2 shown]
	v_add_f32_e32 v20, v22, v21
	v_add_f32_e32 v0, v0, v18
	v_sub_f32_e32 v23, v58, v23
	v_sub_f32_e32 v49, v27, v26
	;; [unrolled: 1-line block ×4, first 2 shown]
	v_add_f32_e32 v50, v17, v3
	v_add_f32_e32 v51, v16, v19
	v_sub_f32_e32 v52, v17, v3
	v_sub_f32_e32 v53, v16, v19
	v_add_f32_e32 v1, v1, v20
	v_mov_b32_e32 v54, v0
	v_sub_f32_e32 v17, v23, v17
	v_sub_f32_e32 v16, v2, v16
	;; [unrolled: 1-line block ×4, first 2 shown]
	v_add_f32_e32 v21, v50, v23
	v_add_f32_e32 v2, v51, v2
	v_mul_f32_e32 v22, 0x3f4a47b2, v25
	v_mul_f32_e32 v23, 0x3f4a47b2, v26
	;; [unrolled: 1-line block ×6, first 2 shown]
	s_mov_b32 s14, 0xbf5ff5aa
	v_fmac_f32_e32 v54, 0xbf955555, v18
	v_mov_b32_e32 v18, v1
	s_mov_b32 s15, 0x3f3bfb3b
	s_mov_b32 s16, 0xbf3bfb3b
	v_mul_f32_e32 v52, 0xbf5ff5aa, v3
	v_mul_f32_e32 v53, 0xbf5ff5aa, v19
	v_fmac_f32_e32 v18, 0xbf955555, v20
	v_fma_f32 v20, v48, s15, -v25
	v_fma_f32 v25, v49, s15, -v26
	;; [unrolled: 1-line block ×3, first 2 shown]
	v_fmac_f32_e32 v22, 0x3d64c772, v24
	v_fma_f32 v24, v49, s16, -v23
	v_fmac_f32_e32 v23, 0x3d64c772, v27
	v_fma_f32 v27, v3, s14, -v50
	;; [unrolled: 2-line block ×3, first 2 shown]
	v_fmac_f32_e32 v51, 0xbeae86e6, v16
	s_mov_b32 s17, 0x3eae86e6
	v_fma_f32 v49, v17, s17, -v52
	v_fma_f32 v52, v16, s17, -v53
	v_add_f32_e32 v53, v22, v54
	v_add_f32_e32 v55, v23, v18
	v_fmac_f32_e32 v50, 0xbee1c552, v21
	v_fmac_f32_e32 v51, 0xbee1c552, v2
	v_add_f32_e32 v20, v20, v54
	v_add_f32_e32 v22, v25, v18
	;; [unrolled: 1-line block ×4, first 2 shown]
	v_fmac_f32_e32 v27, 0xbee1c552, v21
	v_fmac_f32_e32 v48, 0xbee1c552, v2
	;; [unrolled: 1-line block ×4, first 2 shown]
	v_add_f32_e32 v2, v51, v53
	v_sub_f32_e32 v3, v55, v50
	v_add_f32_e32 v16, v52, v23
	v_sub_f32_e32 v17, v24, v49
	v_sub_f32_e32 v18, v20, v48
	v_add_f32_e32 v19, v27, v22
	v_add_f32_e32 v20, v48, v20
	v_sub_f32_e32 v21, v22, v27
	v_sub_f32_e32 v22, v23, v52
	v_add_f32_e32 v23, v49, v24
	v_sub_f32_e32 v24, v53, v51
	v_add_f32_e32 v25, v50, v55
	s_barrier
	ds_write2_b64 v98, v[0:1], v[2:3] offset1:17
	ds_write2_b64 v98, v[16:17], v[18:19] offset0:34 offset1:51
	ds_write2_b64 v98, v[20:21], v[22:23] offset0:68 offset1:85
	ds_write_b64 v98, v[24:25] offset:816
	s_and_saveexec_b64 s[12:13], s[2:3]
	s_cbranch_execz .LBB0_21
; %bb.20:
	v_mul_f32_e32 v0, v5, v85
	v_mul_f32_e32 v2, v11, v79
	;; [unrolled: 1-line block ×6, first 2 shown]
	v_fmac_f32_e32 v0, v4, v84
	v_fmac_f32_e32 v2, v10, v78
	;; [unrolled: 1-line block ×6, first 2 shown]
	v_sub_f32_e32 v16, v0, v2
	v_sub_f32_e32 v1, v17, v18
	;; [unrolled: 1-line block ×5, first 2 shown]
	v_add_f32_e32 v1, v1, v22
	v_add_f32_e32 v25, v1, v16
	v_mul_f32_e32 v1, v11, v78
	v_fma_f32 v10, v10, v79, -v1
	v_mul_f32_e32 v1, v5, v84
	v_fma_f32 v4, v4, v85, -v1
	;; [unrolled: 2-line block ×4, first 2 shown]
	v_add_f32_e32 v26, v2, v0
	v_add_f32_e32 v0, v18, v17
	;; [unrolled: 1-line block ×4, first 2 shown]
	v_sub_f32_e32 v2, v26, v0
	v_mul_f32_e32 v23, 0x3f08b237, v3
	v_sub_f32_e32 v3, v5, v1
	v_mul_f32_e32 v17, 0x3f4a47b2, v2
	v_add_f32_e32 v18, v21, v20
	v_mul_f32_e32 v13, 0x3f4a47b2, v3
	v_mul_f32_e32 v3, v9, v76
	v_sub_f32_e32 v2, v0, v18
	v_mov_b32_e32 v21, v17
	v_fma_f32 v8, v8, v77, -v3
	v_mul_f32_e32 v3, v7, v86
	v_mul_f32_e32 v20, 0x3d64c772, v2
	v_fmac_f32_e32 v21, 0x3d64c772, v2
	v_add_f32_e32 v2, v18, v26
	v_fma_f32 v6, v6, v87, -v3
	v_add_f32_e32 v2, v0, v2
	v_add_f32_e32 v7, v8, v6
	;; [unrolled: 1-line block ×3, first 2 shown]
	v_sub_f32_e32 v3, v1, v7
	v_mov_b32_e32 v14, v13
	v_mov_b32_e32 v27, v0
	v_mul_f32_e32 v9, 0x3d64c772, v3
	v_fmac_f32_e32 v14, 0x3d64c772, v3
	v_add_f32_e32 v3, v7, v5
	v_fmac_f32_e32 v27, 0xbf955555, v2
	v_sub_f32_e32 v2, v12, v11
	v_sub_f32_e32 v6, v6, v8
	v_add_f32_e32 v3, v1, v3
	v_sub_f32_e32 v4, v4, v10
	v_sub_f32_e32 v8, v2, v6
	v_add_f32_e32 v1, v92, v3
	v_sub_f32_e32 v10, v4, v2
	v_mul_f32_e32 v8, 0x3f08b237, v8
	v_add_f32_e32 v2, v2, v6
	v_sub_f32_e32 v16, v22, v16
	v_sub_f32_e32 v6, v6, v4
	v_mov_b32_e32 v24, v23
	v_mov_b32_e32 v15, v1
	;; [unrolled: 1-line block ×3, first 2 shown]
	v_add_f32_e32 v11, v2, v4
	v_mul_f32_e32 v22, 0xbf5ff5aa, v16
	v_sub_f32_e32 v7, v7, v5
	v_sub_f32_e32 v18, v18, v26
	v_mul_f32_e32 v4, 0xbf5ff5aa, v6
	v_fmac_f32_e32 v24, 0xbeae86e6, v19
	v_fmac_f32_e32 v15, 0xbf955555, v3
	;; [unrolled: 1-line block ×3, first 2 shown]
	v_fma_f32 v19, v19, s17, -v22
	v_fma_f32 v5, v7, s16, -v13
	;; [unrolled: 1-line block ×5, first 2 shown]
	v_fmac_f32_e32 v24, 0xbee1c552, v25
	v_add_f32_e32 v14, v14, v15
	v_fmac_f32_e32 v12, 0xbee1c552, v11
	v_fmac_f32_e32 v19, 0xbee1c552, v25
	v_add_f32_e32 v13, v5, v15
	v_fmac_f32_e32 v10, 0xbee1c552, v11
	v_fma_f32 v7, v7, s15, -v9
	v_fmac_f32_e32 v8, 0xbee1c552, v11
	v_add_f32_e32 v11, v6, v27
	v_add_f32_e32 v3, v24, v14
	;; [unrolled: 1-line block ×4, first 2 shown]
	v_fma_f32 v17, v18, s16, -v17
	v_add_f32_e32 v9, v7, v15
	v_fma_f32 v15, v16, s14, -v23
	v_add_f32_e32 v6, v8, v11
	v_sub_f32_e32 v8, v11, v8
	v_sub_f32_e32 v11, v13, v19
	;; [unrolled: 1-line block ×3, first 2 shown]
	v_mul_u32_u24_e32 v14, 0x77, v96
	v_sub_f32_e32 v2, v21, v12
	v_add_f32_e32 v17, v17, v27
	v_fmac_f32_e32 v15, 0xbee1c552, v25
	v_add_f32_e32 v12, v12, v21
	v_add_lshl_u32 v14, v14, v97, 3
	v_sub_f32_e32 v4, v17, v10
	v_sub_f32_e32 v7, v9, v15
	v_add_f32_e32 v9, v15, v9
	v_add_f32_e32 v10, v10, v17
	ds_write2_b64 v14, v[0:1], v[12:13] offset1:17
	ds_write2_b64 v14, v[10:11], v[8:9] offset0:34 offset1:51
	ds_write2_b64 v14, v[6:7], v[4:5] offset0:68 offset1:85
	ds_write_b64 v14, v[2:3] offset:816
.LBB0_21:
	s_or_b64 exec, exec, s[12:13]
	s_waitcnt lgkmcnt(0)
	s_barrier
	ds_read_b64 v[24:25], v93
	ds_read2_b64 v[4:7], v93 offset0:119 offset1:238
	v_add_u32_e32 v3, 0x800, v93
	ds_read2_b64 v[8:11], v3 offset0:101 offset1:220
	v_add_u32_e32 v2, 0x1000, v93
	ds_read2_b64 v[12:15], v2 offset0:83 offset1:202
	s_waitcnt lgkmcnt(2)
	v_mul_f32_e32 v26, v41, v5
	v_add_u32_e32 v1, 0x1800, v93
	v_fmac_f32_e32 v26, v40, v4
	v_mul_f32_e32 v4, v41, v4
	ds_read2_b64 v[16:19], v1 offset0:65 offset1:184
	v_fma_f32 v27, v40, v5, -v4
	v_mul_f32_e32 v40, v43, v7
	v_mul_f32_e32 v4, v43, v6
	v_add_u32_e32 v0, 0x2000, v93
	v_fmac_f32_e32 v40, v42, v6
	v_fma_f32 v6, v42, v7, -v4
	s_waitcnt lgkmcnt(2)
	v_mul_f32_e32 v7, v37, v9
	v_mul_f32_e32 v4, v37, v8
	ds_read2_b64 v[20:23], v0 offset0:47 offset1:166
	v_fmac_f32_e32 v7, v36, v8
	v_fma_f32 v8, v36, v9, -v4
	v_mul_f32_e32 v9, v39, v11
	v_mul_f32_e32 v4, v39, v10
	v_fmac_f32_e32 v9, v38, v10
	v_fma_f32 v10, v38, v11, -v4
	s_waitcnt lgkmcnt(2)
	v_mul_f32_e32 v11, v33, v13
	v_mul_f32_e32 v4, v33, v12
	v_fmac_f32_e32 v11, v32, v12
	v_fma_f32 v12, v32, v13, -v4
	v_mul_f32_e32 v13, v35, v15
	v_mul_f32_e32 v4, v35, v14
	v_fmac_f32_e32 v13, v34, v14
	v_fma_f32 v14, v34, v15, -v4
	s_waitcnt lgkmcnt(1)
	v_mul_f32_e32 v15, v29, v17
	v_mul_f32_e32 v4, v29, v16
	;; [unrolled: 9-line block ×3, first 2 shown]
	v_fmac_f32_e32 v19, v44, v20
	v_fma_f32 v20, v44, v21, -v4
	v_mul_f32_e32 v21, v47, v23
	v_mul_f32_e32 v4, v47, v22
	v_add_f32_e32 v5, v25, v27
	v_fmac_f32_e32 v21, v46, v22
	v_fma_f32 v22, v46, v23, -v4
	v_add_f32_e32 v4, v24, v26
	v_add_f32_e32 v5, v5, v6
	;; [unrolled: 1-line block ×19, first 2 shown]
	v_sub_f32_e32 v22, v27, v22
	v_add_f32_e32 v4, v4, v21
	v_add_f32_e32 v23, v26, v21
	v_sub_f32_e32 v21, v26, v21
	v_mul_f32_e32 v26, 0xbf0a6770, v22
	v_mul_f32_e32 v31, 0xbf68dda4, v22
	v_mul_f32_e32 v35, 0xbf7d64f0, v22
	v_mul_f32_e32 v39, 0xbf4178ce, v22
	v_mul_f32_e32 v22, 0xbe903f40, v22
	s_mov_b32 s14, 0x3f575c64
	v_mov_b32_e32 v27, v26
	s_mov_b32 s12, 0x3ed4b147
	v_mov_b32_e32 v32, v31
	;; [unrolled: 2-line block ×5, first 2 shown]
	v_fmac_f32_e32 v27, 0x3f575c64, v23
	v_mul_f32_e32 v29, 0x3f575c64, v28
	v_fma_f32 v26, v23, s14, -v26
	v_fmac_f32_e32 v32, 0x3ed4b147, v23
	v_mul_f32_e32 v33, 0x3ed4b147, v28
	v_fma_f32 v31, v23, s12, -v31
	;; [unrolled: 3-line block ×5, first 2 shown]
	v_add_f32_e32 v27, v24, v27
	v_mov_b32_e32 v30, v29
	v_add_f32_e32 v26, v24, v26
	v_add_f32_e32 v32, v24, v32
	v_mov_b32_e32 v34, v33
	v_add_f32_e32 v31, v24, v31
	;; [unrolled: 3-line block ×5, first 2 shown]
	v_add_f32_e32 v24, v6, v20
	v_sub_f32_e32 v6, v6, v20
	v_fmac_f32_e32 v30, 0x3f0a6770, v21
	v_fmac_f32_e32 v29, 0xbf0a6770, v21
	;; [unrolled: 1-line block ×10, first 2 shown]
	v_mul_f32_e32 v20, 0xbf68dda4, v6
	v_add_f32_e32 v30, v25, v30
	v_add_f32_e32 v29, v25, v29
	v_add_f32_e32 v34, v25, v34
	v_add_f32_e32 v33, v25, v33
	v_add_f32_e32 v38, v25, v38
	v_add_f32_e32 v37, v25, v37
	v_add_f32_e32 v43, v25, v43
	v_add_f32_e32 v42, v25, v42
	v_add_f32_e32 v45, v25, v45
	v_add_f32_e32 v21, v25, v28
	v_add_f32_e32 v23, v40, v19
	v_mov_b32_e32 v25, v20
	v_fmac_f32_e32 v25, 0x3ed4b147, v23
	v_sub_f32_e32 v19, v40, v19
	v_add_f32_e32 v25, v25, v27
	v_mul_f32_e32 v27, 0x3ed4b147, v24
	v_mov_b32_e32 v28, v27
	v_fma_f32 v20, v23, s12, -v20
	v_fmac_f32_e32 v27, 0xbf68dda4, v19
	v_add_f32_e32 v20, v20, v26
	v_add_f32_e32 v26, v27, v29
	v_mul_f32_e32 v27, 0xbf4178ce, v6
	v_fmac_f32_e32 v28, 0x3f68dda4, v19
	v_mov_b32_e32 v29, v27
	v_add_f32_e32 v28, v28, v30
	v_fmac_f32_e32 v29, 0xbf27a4f4, v23
	v_mul_f32_e32 v30, 0xbf27a4f4, v24
	v_fma_f32 v27, v23, s15, -v27
	v_add_f32_e32 v29, v29, v32
	v_mov_b32_e32 v32, v30
	v_add_f32_e32 v27, v27, v31
	v_fmac_f32_e32 v30, 0xbf4178ce, v19
	v_mul_f32_e32 v31, 0x3e903f40, v6
	v_fmac_f32_e32 v32, 0x3f4178ce, v19
	v_add_f32_e32 v30, v30, v33
	v_mov_b32_e32 v33, v31
	v_add_f32_e32 v32, v32, v34
	v_fmac_f32_e32 v33, 0xbf75a155, v23
	v_mul_f32_e32 v34, 0xbf75a155, v24
	v_fma_f32 v31, v23, s16, -v31
	v_add_f32_e32 v33, v33, v36
	v_mov_b32_e32 v36, v34
	v_add_f32_e32 v31, v31, v35
	v_fmac_f32_e32 v34, 0x3e903f40, v19
	v_mul_f32_e32 v35, 0x3f7d64f0, v6
	v_fmac_f32_e32 v36, 0xbe903f40, v19
	v_add_f32_e32 v34, v34, v37
	v_mov_b32_e32 v37, v35
	v_fma_f32 v35, v23, s13, -v35
	v_mul_f32_e32 v6, 0x3f0a6770, v6
	v_add_f32_e32 v36, v36, v38
	v_fmac_f32_e32 v37, 0xbe11bafb, v23
	v_mul_f32_e32 v38, 0xbe11bafb, v24
	v_add_f32_e32 v35, v35, v39
	v_mov_b32_e32 v39, v6
	v_mul_f32_e32 v24, 0x3f575c64, v24
	v_fma_f32 v6, v23, s14, -v6
	v_add_f32_e32 v37, v37, v41
	v_mov_b32_e32 v40, v38
	v_mov_b32_e32 v41, v24
	v_add_f32_e32 v6, v6, v22
	v_fmac_f32_e32 v24, 0x3f0a6770, v19
	v_add_f32_e32 v22, v8, v18
	v_sub_f32_e32 v8, v8, v18
	v_fmac_f32_e32 v40, 0xbf7d64f0, v19
	v_fmac_f32_e32 v38, 0x3f7d64f0, v19
	;; [unrolled: 1-line block ×4, first 2 shown]
	v_add_f32_e32 v19, v24, v21
	v_add_f32_e32 v21, v7, v17
	v_sub_f32_e32 v7, v7, v17
	v_mul_f32_e32 v17, 0xbf7d64f0, v8
	v_mul_f32_e32 v23, 0xbe11bafb, v22
	v_mov_b32_e32 v18, v17
	v_mov_b32_e32 v24, v23
	v_fma_f32 v17, v21, s13, -v17
	v_fmac_f32_e32 v23, 0xbf7d64f0, v7
	v_fmac_f32_e32 v18, 0xbe11bafb, v21
	v_add_f32_e32 v17, v17, v20
	v_add_f32_e32 v20, v23, v26
	v_mul_f32_e32 v23, 0x3e903f40, v8
	v_add_f32_e32 v18, v18, v25
	v_mov_b32_e32 v25, v23
	v_fma_f32 v23, v21, s16, -v23
	v_fmac_f32_e32 v24, 0x3f7d64f0, v7
	v_fmac_f32_e32 v25, 0xbf75a155, v21
	v_mul_f32_e32 v26, 0xbf75a155, v22
	v_add_f32_e32 v23, v23, v27
	v_mul_f32_e32 v27, 0x3f68dda4, v8
	v_add_f32_e32 v24, v24, v28
	v_add_f32_e32 v25, v25, v29
	v_mov_b32_e32 v28, v26
	v_fmac_f32_e32 v26, 0x3e903f40, v7
	v_mov_b32_e32 v29, v27
	v_fma_f32 v27, v21, s12, -v27
	v_fmac_f32_e32 v28, 0xbe903f40, v7
	v_add_f32_e32 v26, v26, v30
	v_fmac_f32_e32 v29, 0x3ed4b147, v21
	v_mul_f32_e32 v30, 0x3ed4b147, v22
	v_add_f32_e32 v27, v27, v31
	v_mul_f32_e32 v31, 0xbf0a6770, v8
	v_add_f32_e32 v28, v28, v32
	v_add_f32_e32 v29, v29, v33
	v_mov_b32_e32 v32, v30
	v_fmac_f32_e32 v30, 0x3f68dda4, v7
	v_mov_b32_e32 v33, v31
	v_fmac_f32_e32 v32, 0xbf68dda4, v7
	v_add_f32_e32 v30, v30, v34
	v_fmac_f32_e32 v33, 0x3f575c64, v21
	v_mul_f32_e32 v34, 0x3f575c64, v22
	v_mul_f32_e32 v22, 0xbf27a4f4, v22
	v_add_f32_e32 v32, v32, v36
	v_add_f32_e32 v33, v33, v37
	v_mov_b32_e32 v36, v34
	v_fma_f32 v31, v21, s14, -v31
	v_mul_f32_e32 v8, 0xbf4178ce, v8
	v_mov_b32_e32 v37, v22
	v_fmac_f32_e32 v22, 0xbf4178ce, v7
	v_fmac_f32_e32 v36, 0x3f0a6770, v7
	v_add_f32_e32 v31, v31, v35
	v_fmac_f32_e32 v34, 0xbf0a6770, v7
	v_mov_b32_e32 v35, v8
	v_fmac_f32_e32 v37, 0x3f4178ce, v7
	v_fma_f32 v8, v21, s15, -v8
	v_add_f32_e32 v7, v22, v19
	v_add_f32_e32 v19, v10, v16
	v_sub_f32_e32 v10, v10, v16
	v_add_f32_e32 v6, v8, v6
	v_add_f32_e32 v8, v9, v15
	v_sub_f32_e32 v9, v9, v15
	v_mul_f32_e32 v15, 0xbf4178ce, v10
	v_mov_b32_e32 v16, v15
	v_fmac_f32_e32 v16, 0xbf27a4f4, v8
	v_add_f32_e32 v16, v16, v18
	v_mul_f32_e32 v18, 0xbf27a4f4, v19
	v_fmac_f32_e32 v35, 0xbf27a4f4, v21
	v_mov_b32_e32 v21, v18
	v_fma_f32 v15, v8, s15, -v15
	v_fmac_f32_e32 v18, 0xbf4178ce, v9
	v_add_f32_e32 v15, v15, v17
	v_add_f32_e32 v17, v18, v20
	v_mul_f32_e32 v18, 0x3f7d64f0, v10
	v_mov_b32_e32 v20, v18
	v_fma_f32 v18, v8, s13, -v18
	v_fmac_f32_e32 v21, 0x3f4178ce, v9
	v_fmac_f32_e32 v20, 0xbe11bafb, v8
	v_mul_f32_e32 v22, 0xbe11bafb, v19
	v_add_f32_e32 v18, v18, v23
	v_mul_f32_e32 v23, 0xbf0a6770, v10
	v_add_f32_e32 v21, v21, v24
	v_add_f32_e32 v20, v20, v25
	v_mov_b32_e32 v24, v22
	v_fmac_f32_e32 v22, 0x3f7d64f0, v9
	v_mov_b32_e32 v25, v23
	v_fma_f32 v23, v8, s14, -v23
	v_fmac_f32_e32 v24, 0xbf7d64f0, v9
	v_add_f32_e32 v22, v22, v26
	v_fmac_f32_e32 v25, 0x3f575c64, v8
	v_mul_f32_e32 v26, 0x3f575c64, v19
	v_add_f32_e32 v23, v23, v27
	v_mul_f32_e32 v27, 0xbe903f40, v10
	v_add_f32_e32 v24, v24, v28
	v_add_f32_e32 v25, v25, v29
	v_mov_b32_e32 v28, v26
	v_fmac_f32_e32 v26, 0xbf0a6770, v9
	v_mov_b32_e32 v29, v27
	v_fma_f32 v27, v8, s16, -v27
	v_mul_f32_e32 v10, 0x3f68dda4, v10
	v_add_f32_e32 v38, v38, v42
	v_add_f32_e32 v39, v39, v44
	v_fmac_f32_e32 v28, 0x3f0a6770, v9
	v_add_f32_e32 v26, v26, v30
	v_mul_f32_e32 v30, 0xbf75a155, v19
	v_add_f32_e32 v27, v27, v31
	v_mov_b32_e32 v31, v10
	v_add_f32_e32 v40, v40, v43
	v_add_f32_e32 v34, v34, v38
	;; [unrolled: 1-line block ×4, first 2 shown]
	v_fmac_f32_e32 v29, 0xbf75a155, v8
	v_mov_b32_e32 v32, v30
	v_fmac_f32_e32 v30, 0xbe903f40, v9
	v_fmac_f32_e32 v31, 0x3ed4b147, v8
	v_mul_f32_e32 v19, 0x3ed4b147, v19
	v_fma_f32 v8, v8, s12, -v10
	v_sub_f32_e32 v39, v12, v14
	v_add_f32_e32 v41, v41, v45
	v_add_f32_e32 v36, v36, v40
	;; [unrolled: 1-line block ×3, first 2 shown]
	v_fmac_f32_e32 v32, 0x3e903f40, v9
	v_add_f32_e32 v30, v30, v34
	v_mov_b32_e32 v33, v19
	v_add_f32_e32 v34, v8, v6
	v_mul_f32_e32 v8, 0xbe903f40, v39
	v_add_f32_e32 v37, v37, v41
	v_add_f32_e32 v32, v32, v36
	v_fmac_f32_e32 v33, 0xbf68dda4, v9
	v_add_f32_e32 v36, v11, v13
	v_mov_b32_e32 v6, v8
	v_add_f32_e32 v33, v33, v37
	v_add_f32_e32 v37, v12, v14
	v_fmac_f32_e32 v6, 0xbf75a155, v36
	v_fmac_f32_e32 v19, 0x3f68dda4, v9
	v_sub_f32_e32 v38, v11, v13
	v_add_f32_e32 v6, v6, v16
	v_mul_f32_e32 v9, 0xbf75a155, v37
	v_mul_f32_e32 v12, 0x3f0a6770, v39
	v_mul_f32_e32 v13, 0x3f575c64, v37
	v_mul_f32_e32 v16, 0xbf4178ce, v39
	v_add_f32_e32 v31, v31, v35
	v_add_f32_e32 v35, v19, v7
	v_mov_b32_e32 v7, v9
	v_mov_b32_e32 v10, v12
	;; [unrolled: 1-line block ×4, first 2 shown]
	v_fmac_f32_e32 v7, 0x3e903f40, v38
	v_fmac_f32_e32 v10, 0x3f575c64, v36
	;; [unrolled: 1-line block ×4, first 2 shown]
	v_add_f32_e32 v7, v7, v21
	v_fmac_f32_e32 v9, 0xbe903f40, v38
	v_add_f32_e32 v10, v10, v20
	v_add_f32_e32 v11, v11, v24
	v_fma_f32 v12, v36, s14, -v12
	v_fmac_f32_e32 v13, 0x3f0a6770, v38
	v_add_f32_e32 v14, v14, v25
	v_fma_f32 v16, v36, s15, -v16
	v_mul_f32_e32 v20, 0x3f68dda4, v39
	v_mul_f32_e32 v21, 0x3ed4b147, v37
	;; [unrolled: 1-line block ×4, first 2 shown]
	v_fma_f32 v8, v36, s16, -v8
	v_add_f32_e32 v9, v9, v17
	v_add_f32_e32 v12, v12, v18
	;; [unrolled: 1-line block ×3, first 2 shown]
	v_mul_f32_e32 v17, 0xbf27a4f4, v37
	v_add_f32_e32 v16, v16, v23
	v_mov_b32_e32 v18, v20
	v_mov_b32_e32 v19, v21
	;; [unrolled: 1-line block ×4, first 2 shown]
	v_add_f32_e32 v8, v8, v15
	v_mov_b32_e32 v15, v17
	v_fmac_f32_e32 v18, 0x3ed4b147, v36
	v_fmac_f32_e32 v19, 0xbf68dda4, v38
	;; [unrolled: 1-line block ×6, first 2 shown]
	v_add_f32_e32 v18, v18, v29
	v_add_f32_e32 v19, v19, v32
	v_fma_f32 v20, v36, s12, -v20
	v_fmac_f32_e32 v21, 0x3f68dda4, v38
	v_add_f32_e32 v22, v22, v31
	v_add_f32_e32 v23, v23, v33
	v_fma_f32 v24, v36, s13, -v24
	v_fmac_f32_e32 v25, 0xbf7d64f0, v38
	ds_write_b64 v93, v[4:5]
	ds_write_b64 v93, v[6:7] offset:952
	v_add_u32_e32 v4, 0xc00, v93
	s_movk_i32 s3, 0x1000
	s_movk_i32 s2, 0x2000
	v_add_f32_e32 v15, v15, v28
	v_add_f32_e32 v17, v17, v26
	;; [unrolled: 1-line block ×6, first 2 shown]
	v_add_u32_e32 v6, 0x400, v93
	ds_write2_b64 v4, v[18:19], v[22:23] offset0:92 offset1:211
	v_add_u32_e32 v5, 0x1400, v93
	v_add_u32_e32 v4, 0x1c00, v93
	ds_write2_b64 v6, v[10:11], v[14:15] offset0:110 offset1:229
	ds_write2_b64 v5, v[24:25], v[20:21] offset0:74 offset1:193
	;; [unrolled: 1-line block ×3, first 2 shown]
	ds_write_b64 v93, v[8:9] offset:9520
	s_waitcnt lgkmcnt(0)
	s_barrier
	s_and_b64 exec, exec, s[0:1]
	s_cbranch_execz .LBB0_23
; %bb.22:
	global_load_dwordx2 v[7:8], v93, s[8:9]
	ds_read_b64 v[9:10], v93
	v_mad_u64_u32 v[11:12], s[0:1], s6, v88, 0
	v_mad_u64_u32 v[13:14], s[0:1], s4, v94, 0
	s_mov_b32 s0, 0xd336f476
	s_mov_b32 s1, 0x3f490868
	v_mad_u64_u32 v[15:16], s[6:7], s7, v88, v[12:13]
	v_mov_b32_e32 v18, s11
	v_mad_u64_u32 v[16:17], s[6:7], s5, v94, v[14:15]
	s_mulk_i32 s5, 0x268
	s_mul_hi_u32 s6, s4, 0x268
	v_mov_b32_e32 v14, v16
	v_lshlrev_b64 v[13:14], 3, v[13:14]
	s_mulk_i32 s4, 0x268
	s_add_i32 s5, s6, s5
	s_waitcnt vmcnt(0) lgkmcnt(0)
	v_mul_f32_e32 v12, v10, v8
	v_mul_f32_e32 v8, v9, v8
	v_fmac_f32_e32 v12, v9, v7
	v_fma_f32 v9, v7, v10, -v8
	v_cvt_f64_f32_e32 v[7:8], v12
	v_cvt_f64_f32_e32 v[9:10], v9
	v_mov_b32_e32 v12, v15
	v_lshlrev_b64 v[11:12], 3, v[11:12]
	v_mul_f64 v[7:8], v[7:8], s[0:1]
	v_mul_f64 v[9:10], v[9:10], s[0:1]
	v_add_co_u32_e32 v11, vcc, s10, v11
	v_addc_co_u32_e32 v12, vcc, v18, v12, vcc
	v_add_co_u32_e32 v11, vcc, v11, v13
	v_cvt_f32_f64_e32 v7, v[7:8]
	v_cvt_f32_f64_e32 v8, v[9:10]
	v_addc_co_u32_e32 v12, vcc, v12, v14, vcc
	global_store_dwordx2 v[11:12], v[7:8], off
	global_load_dwordx2 v[13:14], v93, s[8:9] offset:616
	ds_read2_b64 v[7:10], v93 offset0:77 offset1:154
	v_add_co_u32_e32 v11, vcc, s4, v11
	s_waitcnt vmcnt(0) lgkmcnt(0)
	v_mul_f32_e32 v15, v8, v14
	v_mul_f32_e32 v14, v7, v14
	v_fmac_f32_e32 v15, v7, v13
	v_fma_f32 v13, v13, v8, -v14
	v_cvt_f64_f32_e32 v[7:8], v15
	v_cvt_f64_f32_e32 v[13:14], v13
	v_mov_b32_e32 v15, s5
	v_addc_co_u32_e32 v12, vcc, v12, v15, vcc
	v_mul_f64 v[7:8], v[7:8], s[0:1]
	v_mul_f64 v[13:14], v[13:14], s[0:1]
	v_cvt_f32_f64_e32 v7, v[7:8]
	v_cvt_f32_f64_e32 v8, v[13:14]
	global_store_dwordx2 v[11:12], v[7:8], off
	global_load_dwordx2 v[7:8], v93, s[8:9] offset:1232
	s_waitcnt vmcnt(0)
	v_mul_f32_e32 v13, v10, v8
	v_mul_f32_e32 v8, v9, v8
	v_fmac_f32_e32 v13, v9, v7
	v_fma_f32 v9, v7, v10, -v8
	v_cvt_f64_f32_e32 v[7:8], v13
	v_cvt_f64_f32_e32 v[9:10], v9
	v_mov_b32_e32 v13, s5
	v_mul_f64 v[7:8], v[7:8], s[0:1]
	v_mul_f64 v[9:10], v[9:10], s[0:1]
	v_cvt_f32_f64_e32 v7, v[7:8]
	v_cvt_f32_f64_e32 v8, v[9:10]
	v_add_co_u32_e32 v10, vcc, s4, v11
	v_addc_co_u32_e32 v11, vcc, v12, v13, vcc
	global_store_dwordx2 v[10:11], v[7:8], off
	global_load_dwordx2 v[12:13], v93, s[8:9] offset:1848
	ds_read2_b64 v[6:9], v6 offset0:103 offset1:180
	v_add_co_u32_e32 v10, vcc, s4, v10
	s_waitcnt vmcnt(0) lgkmcnt(0)
	v_mul_f32_e32 v14, v7, v13
	v_mul_f32_e32 v13, v6, v13
	v_fmac_f32_e32 v14, v6, v12
	v_fma_f32 v12, v12, v7, -v13
	v_cvt_f64_f32_e32 v[6:7], v14
	v_cvt_f64_f32_e32 v[12:13], v12
	v_mov_b32_e32 v14, s5
	v_addc_co_u32_e32 v11, vcc, v11, v14, vcc
	v_mul_f64 v[6:7], v[6:7], s[0:1]
	v_mul_f64 v[12:13], v[12:13], s[0:1]
	v_cvt_f32_f64_e32 v6, v[6:7]
	v_cvt_f32_f64_e32 v7, v[12:13]
	global_store_dwordx2 v[10:11], v[6:7], off
	global_load_dwordx2 v[6:7], v93, s[8:9] offset:2464
	v_add_co_u32_e32 v10, vcc, s4, v10
	s_waitcnt vmcnt(0)
	v_mul_f32_e32 v12, v9, v7
	v_mul_f32_e32 v7, v8, v7
	v_fmac_f32_e32 v12, v8, v6
	v_fma_f32 v8, v6, v9, -v7
	v_cvt_f64_f32_e32 v[6:7], v12
	v_cvt_f64_f32_e32 v[8:9], v8
	v_mov_b32_e32 v12, s5
	v_addc_co_u32_e32 v11, vcc, v11, v12, vcc
	v_mul_f64 v[6:7], v[6:7], s[0:1]
	v_mul_f64 v[8:9], v[8:9], s[0:1]
	v_cvt_f32_f64_e32 v6, v[6:7]
	v_cvt_f32_f64_e32 v7, v[8:9]
	global_store_dwordx2 v[10:11], v[6:7], off
	global_load_dwordx2 v[12:13], v93, s[8:9] offset:3080
	ds_read2_b64 v[6:9], v3 offset0:129 offset1:206
	v_add_co_u32_e32 v10, vcc, s4, v10
	s_waitcnt vmcnt(0) lgkmcnt(0)
	v_mul_f32_e32 v3, v7, v13
	v_mul_f32_e32 v13, v6, v13
	v_fmac_f32_e32 v3, v6, v12
	v_fma_f32 v12, v12, v7, -v13
	v_cvt_f64_f32_e32 v[6:7], v3
	v_cvt_f64_f32_e32 v[12:13], v12
	v_mov_b32_e32 v3, s5
	v_addc_co_u32_e32 v11, vcc, v11, v3, vcc
	v_mul_f64 v[6:7], v[6:7], s[0:1]
	v_mul_f64 v[12:13], v[12:13], s[0:1]
	v_add_co_u32_e32 v16, vcc, s8, v93
	v_cvt_f32_f64_e32 v6, v[6:7]
	v_cvt_f32_f64_e32 v7, v[12:13]
	global_store_dwordx2 v[10:11], v[6:7], off
	global_load_dwordx2 v[6:7], v93, s[8:9] offset:3696
	s_waitcnt vmcnt(0)
	v_mul_f32_e32 v3, v9, v7
	v_mul_f32_e32 v7, v8, v7
	v_fmac_f32_e32 v3, v8, v6
	v_fma_f32 v8, v6, v9, -v7
	v_cvt_f64_f32_e32 v[6:7], v3
	v_cvt_f64_f32_e32 v[8:9], v8
	v_mov_b32_e32 v3, s9
	v_addc_co_u32_e32 v17, vcc, 0, v3, vcc
	v_mul_f64 v[6:7], v[6:7], s[0:1]
	v_mul_f64 v[8:9], v[8:9], s[0:1]
	v_add_co_u32_e32 v12, vcc, s3, v16
	v_addc_co_u32_e32 v13, vcc, 0, v17, vcc
	v_mov_b32_e32 v3, s5
	v_add_co_u32_e32 v10, vcc, s4, v10
	v_cvt_f32_f64_e32 v6, v[6:7]
	v_cvt_f32_f64_e32 v7, v[8:9]
	v_addc_co_u32_e32 v11, vcc, v11, v3, vcc
	global_store_dwordx2 v[10:11], v[6:7], off
	global_load_dwordx2 v[14:15], v[12:13], off offset:216
	ds_read2_b64 v[6:9], v2 offset0:27 offset1:104
	s_waitcnt vmcnt(0) lgkmcnt(0)
	v_mul_f32_e32 v2, v7, v15
	v_mul_f32_e32 v3, v6, v15
	v_fmac_f32_e32 v2, v6, v14
	v_fma_f32 v6, v14, v7, -v3
	v_cvt_f64_f32_e32 v[2:3], v2
	v_cvt_f64_f32_e32 v[6:7], v6
	v_mov_b32_e32 v14, s5
	v_mul_f64 v[2:3], v[2:3], s[0:1]
	v_mul_f64 v[6:7], v[6:7], s[0:1]
	v_cvt_f32_f64_e32 v2, v[2:3]
	v_cvt_f32_f64_e32 v3, v[6:7]
	v_add_co_u32_e32 v6, vcc, s4, v10
	v_addc_co_u32_e32 v7, vcc, v11, v14, vcc
	global_store_dwordx2 v[6:7], v[2:3], off
	global_load_dwordx2 v[2:3], v[12:13], off offset:832
	s_waitcnt vmcnt(0)
	v_mul_f32_e32 v10, v9, v3
	v_mul_f32_e32 v3, v8, v3
	v_fmac_f32_e32 v10, v8, v2
	v_fma_f32 v8, v2, v9, -v3
	v_cvt_f64_f32_e32 v[2:3], v10
	v_cvt_f64_f32_e32 v[8:9], v8
	v_mov_b32_e32 v10, s5
	v_mul_f64 v[2:3], v[2:3], s[0:1]
	v_mul_f64 v[8:9], v[8:9], s[0:1]
	v_cvt_f32_f64_e32 v2, v[2:3]
	v_cvt_f32_f64_e32 v3, v[8:9]
	v_add_co_u32_e32 v9, vcc, s4, v6
	v_addc_co_u32_e32 v10, vcc, v7, v10, vcc
	global_store_dwordx2 v[9:10], v[2:3], off
	global_load_dwordx2 v[2:3], v[12:13], off offset:1448
	ds_read2_b64 v[5:8], v5 offset0:53 offset1:130
	s_waitcnt vmcnt(0) lgkmcnt(0)
	v_mul_f32_e32 v11, v6, v3
	v_mul_f32_e32 v3, v5, v3
	v_fmac_f32_e32 v11, v5, v2
	v_fma_f32 v5, v2, v6, -v3
	v_cvt_f64_f32_e32 v[2:3], v11
	v_cvt_f64_f32_e32 v[5:6], v5
	v_mov_b32_e32 v11, s5
	v_mul_f64 v[2:3], v[2:3], s[0:1]
	v_mul_f64 v[5:6], v[5:6], s[0:1]
	v_cvt_f32_f64_e32 v2, v[2:3]
	v_cvt_f32_f64_e32 v3, v[5:6]
	v_add_co_u32_e32 v5, vcc, s4, v9
	v_addc_co_u32_e32 v6, vcc, v10, v11, vcc
	global_store_dwordx2 v[5:6], v[2:3], off
	global_load_dwordx2 v[2:3], v[12:13], off offset:2064
	v_mov_b32_e32 v10, s5
	s_waitcnt vmcnt(0)
	v_mul_f32_e32 v9, v8, v3
	v_mul_f32_e32 v3, v7, v3
	v_fmac_f32_e32 v9, v7, v2
	v_fma_f32 v7, v2, v8, -v3
	v_cvt_f64_f32_e32 v[2:3], v9
	v_cvt_f64_f32_e32 v[7:8], v7
	v_add_co_u32_e32 v9, vcc, s4, v5
	v_mul_f64 v[2:3], v[2:3], s[0:1]
	v_mul_f64 v[7:8], v[7:8], s[0:1]
	v_addc_co_u32_e32 v10, vcc, v6, v10, vcc
	v_cvt_f32_f64_e32 v2, v[2:3]
	v_cvt_f32_f64_e32 v3, v[7:8]
	ds_read2_b64 v[5:8], v1 offset0:79 offset1:156
	global_store_dwordx2 v[9:10], v[2:3], off
	global_load_dwordx2 v[2:3], v[12:13], off offset:2680
	s_waitcnt vmcnt(0) lgkmcnt(0)
	v_mul_f32_e32 v1, v6, v3
	v_mul_f32_e32 v3, v5, v3
	v_fmac_f32_e32 v1, v5, v2
	v_fma_f32 v3, v2, v6, -v3
	v_cvt_f64_f32_e32 v[1:2], v1
	v_cvt_f64_f32_e32 v[5:6], v3
	v_mov_b32_e32 v3, s5
	v_mul_f64 v[1:2], v[1:2], s[0:1]
	v_mul_f64 v[5:6], v[5:6], s[0:1]
	v_cvt_f32_f64_e32 v1, v[1:2]
	v_cvt_f32_f64_e32 v2, v[5:6]
	v_add_co_u32_e32 v5, vcc, s4, v9
	v_addc_co_u32_e32 v6, vcc, v10, v3, vcc
	global_store_dwordx2 v[5:6], v[1:2], off
	global_load_dwordx2 v[1:2], v[12:13], off offset:3296
	v_add_co_u32_e32 v5, vcc, s4, v5
	s_waitcnt vmcnt(0)
	v_mul_f32_e32 v3, v8, v2
	v_mul_f32_e32 v2, v7, v2
	v_fmac_f32_e32 v3, v7, v1
	v_fma_f32 v7, v1, v8, -v2
	v_cvt_f64_f32_e32 v[1:2], v3
	v_cvt_f64_f32_e32 v[7:8], v7
	v_mov_b32_e32 v3, s5
	v_addc_co_u32_e32 v6, vcc, v6, v3, vcc
	v_mul_f64 v[1:2], v[1:2], s[0:1]
	v_mul_f64 v[7:8], v[7:8], s[0:1]
	v_cvt_f32_f64_e32 v1, v[1:2]
	v_cvt_f32_f64_e32 v2, v[7:8]
	global_store_dwordx2 v[5:6], v[1:2], off
	global_load_dwordx2 v[7:8], v[12:13], off offset:3912
	ds_read2_b64 v[1:4], v4 offset0:105 offset1:182
	s_waitcnt vmcnt(0) lgkmcnt(0)
	v_mul_f32_e32 v9, v2, v8
	v_mul_f32_e32 v8, v1, v8
	v_fmac_f32_e32 v9, v1, v7
	v_fma_f32 v7, v7, v2, -v8
	v_cvt_f64_f32_e32 v[1:2], v9
	v_cvt_f64_f32_e32 v[7:8], v7
	v_add_co_u32_e32 v9, vcc, s2, v16
	v_mul_f64 v[1:2], v[1:2], s[0:1]
	v_mul_f64 v[7:8], v[7:8], s[0:1]
	v_addc_co_u32_e32 v10, vcc, 0, v17, vcc
	v_add_co_u32_e32 v5, vcc, s4, v5
	v_addc_co_u32_e32 v6, vcc, v6, v11, vcc
	v_cvt_f32_f64_e32 v1, v[1:2]
	v_cvt_f32_f64_e32 v2, v[7:8]
	global_store_dwordx2 v[5:6], v[1:2], off
	global_load_dwordx2 v[1:2], v[9:10], off offset:432
	s_waitcnt vmcnt(0)
	v_mul_f32_e32 v7, v4, v2
	v_mul_f32_e32 v2, v3, v2
	v_fmac_f32_e32 v7, v3, v1
	v_fma_f32 v3, v1, v4, -v2
	v_cvt_f64_f32_e32 v[1:2], v7
	v_cvt_f64_f32_e32 v[3:4], v3
	v_mov_b32_e32 v7, s5
	v_mul_f64 v[1:2], v[1:2], s[0:1]
	v_mul_f64 v[3:4], v[3:4], s[0:1]
	v_cvt_f32_f64_e32 v1, v[1:2]
	v_cvt_f32_f64_e32 v2, v[3:4]
	v_add_co_u32_e32 v4, vcc, s4, v5
	v_addc_co_u32_e32 v5, vcc, v6, v7, vcc
	global_store_dwordx2 v[4:5], v[1:2], off
	global_load_dwordx2 v[6:7], v[9:10], off offset:1048
	ds_read2_b64 v[0:3], v0 offset0:131 offset1:208
	v_add_co_u32_e32 v4, vcc, s4, v4
	s_waitcnt vmcnt(0) lgkmcnt(0)
	v_mul_f32_e32 v8, v1, v7
	v_mul_f32_e32 v7, v0, v7
	v_fmac_f32_e32 v8, v0, v6
	v_fma_f32 v6, v6, v1, -v7
	v_cvt_f64_f32_e32 v[0:1], v8
	v_cvt_f64_f32_e32 v[6:7], v6
	v_mov_b32_e32 v8, s5
	v_addc_co_u32_e32 v5, vcc, v5, v8, vcc
	v_mul_f64 v[0:1], v[0:1], s[0:1]
	v_mul_f64 v[6:7], v[6:7], s[0:1]
	v_cvt_f32_f64_e32 v0, v[0:1]
	v_cvt_f32_f64_e32 v1, v[6:7]
	global_store_dwordx2 v[4:5], v[0:1], off
	global_load_dwordx2 v[0:1], v[9:10], off offset:1664
	s_waitcnt vmcnt(0)
	v_mul_f32_e32 v6, v3, v1
	v_mul_f32_e32 v1, v2, v1
	v_fmac_f32_e32 v6, v2, v0
	v_fma_f32 v2, v0, v3, -v1
	v_cvt_f64_f32_e32 v[0:1], v6
	v_cvt_f64_f32_e32 v[2:3], v2
	v_mov_b32_e32 v6, s5
	v_mul_f64 v[0:1], v[0:1], s[0:1]
	v_mul_f64 v[2:3], v[2:3], s[0:1]
	v_cvt_f32_f64_e32 v0, v[0:1]
	v_cvt_f32_f64_e32 v1, v[2:3]
	v_add_co_u32_e32 v2, vcc, s4, v4
	v_addc_co_u32_e32 v3, vcc, v5, v6, vcc
	global_store_dwordx2 v[2:3], v[0:1], off
.LBB0_23:
	s_endpgm
	.section	.rodata,"a",@progbits
	.p2align	6, 0x0
	.amdhsa_kernel bluestein_single_fwd_len1309_dim1_sp_op_CI_CI
		.amdhsa_group_segment_fixed_size 10472
		.amdhsa_private_segment_fixed_size 0
		.amdhsa_kernarg_size 104
		.amdhsa_user_sgpr_count 6
		.amdhsa_user_sgpr_private_segment_buffer 1
		.amdhsa_user_sgpr_dispatch_ptr 0
		.amdhsa_user_sgpr_queue_ptr 0
		.amdhsa_user_sgpr_kernarg_segment_ptr 1
		.amdhsa_user_sgpr_dispatch_id 0
		.amdhsa_user_sgpr_flat_scratch_init 0
		.amdhsa_user_sgpr_private_segment_size 0
		.amdhsa_uses_dynamic_stack 0
		.amdhsa_system_sgpr_private_segment_wavefront_offset 0
		.amdhsa_system_sgpr_workgroup_id_x 1
		.amdhsa_system_sgpr_workgroup_id_y 0
		.amdhsa_system_sgpr_workgroup_id_z 0
		.amdhsa_system_sgpr_workgroup_info 0
		.amdhsa_system_vgpr_workitem_id 0
		.amdhsa_next_free_vgpr 250
		.amdhsa_next_free_sgpr 22
		.amdhsa_reserve_vcc 1
		.amdhsa_reserve_flat_scratch 0
		.amdhsa_float_round_mode_32 0
		.amdhsa_float_round_mode_16_64 0
		.amdhsa_float_denorm_mode_32 3
		.amdhsa_float_denorm_mode_16_64 3
		.amdhsa_dx10_clamp 1
		.amdhsa_ieee_mode 1
		.amdhsa_fp16_overflow 0
		.amdhsa_exception_fp_ieee_invalid_op 0
		.amdhsa_exception_fp_denorm_src 0
		.amdhsa_exception_fp_ieee_div_zero 0
		.amdhsa_exception_fp_ieee_overflow 0
		.amdhsa_exception_fp_ieee_underflow 0
		.amdhsa_exception_fp_ieee_inexact 0
		.amdhsa_exception_int_div_zero 0
	.end_amdhsa_kernel
	.text
.Lfunc_end0:
	.size	bluestein_single_fwd_len1309_dim1_sp_op_CI_CI, .Lfunc_end0-bluestein_single_fwd_len1309_dim1_sp_op_CI_CI
                                        ; -- End function
	.section	.AMDGPU.csdata,"",@progbits
; Kernel info:
; codeLenInByte = 21992
; NumSgprs: 26
; NumVgprs: 250
; ScratchSize: 0
; MemoryBound: 0
; FloatMode: 240
; IeeeMode: 1
; LDSByteSize: 10472 bytes/workgroup (compile time only)
; SGPRBlocks: 3
; VGPRBlocks: 62
; NumSGPRsForWavesPerEU: 26
; NumVGPRsForWavesPerEU: 250
; Occupancy: 1
; WaveLimiterHint : 1
; COMPUTE_PGM_RSRC2:SCRATCH_EN: 0
; COMPUTE_PGM_RSRC2:USER_SGPR: 6
; COMPUTE_PGM_RSRC2:TRAP_HANDLER: 0
; COMPUTE_PGM_RSRC2:TGID_X_EN: 1
; COMPUTE_PGM_RSRC2:TGID_Y_EN: 0
; COMPUTE_PGM_RSRC2:TGID_Z_EN: 0
; COMPUTE_PGM_RSRC2:TIDIG_COMP_CNT: 0
	.type	__hip_cuid_f37ef5b003d0350c,@object ; @__hip_cuid_f37ef5b003d0350c
	.section	.bss,"aw",@nobits
	.globl	__hip_cuid_f37ef5b003d0350c
__hip_cuid_f37ef5b003d0350c:
	.byte	0                               ; 0x0
	.size	__hip_cuid_f37ef5b003d0350c, 1

	.ident	"AMD clang version 19.0.0git (https://github.com/RadeonOpenCompute/llvm-project roc-6.4.0 25133 c7fe45cf4b819c5991fe208aaa96edf142730f1d)"
	.section	".note.GNU-stack","",@progbits
	.addrsig
	.addrsig_sym __hip_cuid_f37ef5b003d0350c
	.amdgpu_metadata
---
amdhsa.kernels:
  - .args:
      - .actual_access:  read_only
        .address_space:  global
        .offset:         0
        .size:           8
        .value_kind:     global_buffer
      - .actual_access:  read_only
        .address_space:  global
        .offset:         8
        .size:           8
        .value_kind:     global_buffer
      - .actual_access:  read_only
        .address_space:  global
        .offset:         16
        .size:           8
        .value_kind:     global_buffer
      - .actual_access:  read_only
        .address_space:  global
        .offset:         24
        .size:           8
        .value_kind:     global_buffer
      - .actual_access:  read_only
        .address_space:  global
        .offset:         32
        .size:           8
        .value_kind:     global_buffer
      - .offset:         40
        .size:           8
        .value_kind:     by_value
      - .address_space:  global
        .offset:         48
        .size:           8
        .value_kind:     global_buffer
      - .address_space:  global
        .offset:         56
        .size:           8
        .value_kind:     global_buffer
      - .address_space:  global
        .offset:         64
        .size:           8
        .value_kind:     global_buffer
      - .address_space:  global
        .offset:         72
        .size:           8
        .value_kind:     global_buffer
      - .offset:         80
        .size:           4
        .value_kind:     by_value
      - .address_space:  global
        .offset:         88
        .size:           8
        .value_kind:     global_buffer
      - .address_space:  global
        .offset:         96
        .size:           8
        .value_kind:     global_buffer
    .group_segment_fixed_size: 10472
    .kernarg_segment_align: 8
    .kernarg_segment_size: 104
    .language:       OpenCL C
    .language_version:
      - 2
      - 0
    .max_flat_workgroup_size: 119
    .name:           bluestein_single_fwd_len1309_dim1_sp_op_CI_CI
    .private_segment_fixed_size: 0
    .sgpr_count:     26
    .sgpr_spill_count: 0
    .symbol:         bluestein_single_fwd_len1309_dim1_sp_op_CI_CI.kd
    .uniform_work_group_size: 1
    .uses_dynamic_stack: false
    .vgpr_count:     250
    .vgpr_spill_count: 0
    .wavefront_size: 64
amdhsa.target:   amdgcn-amd-amdhsa--gfx906
amdhsa.version:
  - 1
  - 2
...

	.end_amdgpu_metadata
